;; amdgpu-corpus repo=triton-lang/triton kind=triton arch=gfx950 opt=O3 lang=triton
	.amdgcn_target "amdgcn-amd-amdhsa--gfx950"
	.amdhsa_code_object_version 5
	.text
	.globl	matmul_kernel_persistent        ; -- Begin function matmul_kernel_persistent
	.p2align	8
	.type	matmul_kernel_persistent,@function
matmul_kernel_persistent:               ; @matmul_kernel_persistent
.Lfunc_begin0:
	.cfi_sections .debug_frame
	.cfi_startproc
; %bb.209:
	.file	1 "/root/src/amdgpu-assembly/repos/triton-lang__triton-aot" "persistent_matmul.py"
	.loc	1 19 0 prologue_end             ; persistent_matmul.py:19:0
	s_load_dwordx2 s[2:3], s[0:1], 0x0
	s_load_dwordx8 s[4:11], s[0:1], 0x8
	s_load_dwordx4 s[12:15], s[0:1], 0x28
	s_waitcnt lgkmcnt(0)
	s_branch .LBB0_0
	.loc	1 0 0 is_stmt 0                 ; :0:0
.Ltmp0:
	.p2align	8
; %bb.210:
.LBB0_0:
	s_load_dword s17, s[0:1], 0x38
.Ltmp1:
	.file	2 "/root/.local/lib/python3.13/site-packages/triton/language" "standard.py"
	.loc	2 43 17 is_stmt 1               ; standard.py:43:17 @[ persistent_matmul.py:31:27 ]
	s_add_i32 s0, s8, 63
	.loc	2 43 30 is_stmt 0               ; standard.py:43:30 @[ persistent_matmul.py:31:27 ]
	s_ashr_i32 s1, s0, 31
	s_lshr_b32 s1, s1, 26
	s_add_i32 s0, s0, s1
	s_ashr_i32 s26, s0, 6
.Ltmp2:
	.loc	2 43 17                         ; standard.py:43:17 @[ persistent_matmul.py:32:27 ]
	s_add_i32 s0, s9, 63
	.loc	2 43 30                         ; standard.py:43:30 @[ persistent_matmul.py:32:27 ]
	s_ashr_i32 s1, s0, 31
	s_lshr_b32 s1, s1, 26
.Ltmp3:
	.loc	1 61 24 is_stmt 1               ; persistent_matmul.py:61:24
	v_readfirstlane_b32 s18, v0
.Ltmp4:
	.loc	2 43 30                         ; standard.py:43:30 @[ persistent_matmul.py:32:27 ]
	s_add_i32 s0, s0, s1
	s_ashr_i32 s0, s0, 6
.Ltmp5:
	.loc	1 47 41                         ; persistent_matmul.py:47:41
	s_and_b32 s33, s18, 0x80
	.loc	1 34 28                         ; persistent_matmul.py:34:28
	s_mul_i32 s27, s0, s26
	.loc	1 41 38                         ; persistent_matmul.py:41:38
	s_lshl_b32 s28, s0, 3
	.loc	1 47 41                         ; persistent_matmul.py:47:41
	v_and_b32_e32 v1, 31, v0
	s_lshr_b32 s0, s33, 2
	v_and_b32_e32 v44, 32, v0
	s_and_b32 s34, s18, 64
	v_or_b32_e32 v26, s0, v1
	v_lshrrev_b32_e32 v43, 3, v44
	s_lshr_b32 s0, s34, 1
	v_or_b32_e32 v27, s0, v43
	.loc	1 55 24                         ; persistent_matmul.py:55:24
	s_add_i32 s0, s10, 30
	.loc	1 47 41                         ; persistent_matmul.py:47:41
	v_or_b32_e32 v28, 1, v27
	v_or_b32_e32 v29, 2, v27
	;; [unrolled: 1-line block ×15, first 2 shown]
	.loc	1 55 24                         ; persistent_matmul.py:55:24
	s_cmp_gt_u32 s0, 30
	s_mov_b64 s[0:1], -1
	s_cbranch_scc0 .LBB0_172
; %bb.1:
.Ltmp6:
	.loc	2 43 17                         ; standard.py:43:17 @[ persistent_matmul.py:33:25 ]
	s_add_i32 s0, s10, 15
	.loc	2 43 30 is_stmt 0               ; standard.py:43:30 @[ persistent_matmul.py:33:25 ]
	s_ashr_i32 s1, s0, 31
	s_lshr_b32 s1, s1, 28
.Ltmp7:
	.loc	1 74 25 is_stmt 1               ; persistent_matmul.py:74:25
	s_and_b32 s24, s18, 0xc0
.Ltmp8:
	.loc	2 43 30                         ; standard.py:43:30 @[ persistent_matmul.py:33:25 ]
	s_add_i32 s0, s0, s1
.Ltmp9:
	.loc	1 43 59 is_stmt 0               ; persistent_matmul.py:43:59
	s_sub_i32 s18, s27, s16
.Ltmp10:
	.loc	2 43 30                         ; standard.py:43:30 @[ persistent_matmul.py:33:25 ]
	s_ashr_i32 s20, s0, 4
.Ltmp11:
	.loc	1 43 59                         ; persistent_matmul.py:43:59
	s_mul_hi_i32 s0, s18, 0x4ec4ec4f
	s_lshr_b32 s21, s0, 31
	s_ashr_i32 s22, s0, 5
	s_add_i32 s0, s22, s21
	s_mulk_i32 s0, 0x68
	s_cmp_lg_u32 s18, s0
	s_cselect_b64 s[0:1], -1, 0
	s_cmp_gt_i32 s18, -1
	s_cselect_b64 s[18:19], -1, 0
	s_and_b64 s[0:1], s[18:19], s[0:1]
	s_addc_u32 s41, s22, s21
	s_max_i32 s35, s20, 1
	s_mul_i32 s41, s41, s35
	s_cmp_gt_i32 s41, 0
	s_cselect_b64 s[20:21], -1, 0
.Ltmp12:
	.loc	1 10 26 is_stmt 1               ; persistent_matmul.py:10:26 @[ persistent_matmul.py:44:88 ]
	s_abs_i32 s29, s28
	v_cvt_f32_u32_e32 v2, s29
	s_sub_i32 s19, 0, s29
	s_abs_i32 s18, s16
	s_ashr_i32 s0, s16, 31
	v_rcp_iflag_f32_e32 v2, v2
	s_ashr_i32 s30, s28, 31
	s_xor_b32 s1, s0, s30
.Ltmp13:
	.loc	1 40 35                         ; persistent_matmul.py:40:35
	v_and_b32_e32 v45, 63, v0
.Ltmp14:
	.loc	1 10 26                         ; persistent_matmul.py:10:26 @[ persistent_matmul.py:44:88 ]
	v_mul_f32_e32 v2, 0x4f7ffffe, v2
	v_cvt_u32_f32_e32 v2, v2
.Ltmp15:
	.loc	1 40 35                         ; persistent_matmul.py:40:35
	v_and_b32_e32 v46, 15, v0
	.loc	1 57 79                         ; persistent_matmul.py:57:79
	v_mul_lo_u32 v7, s12, v46
	v_mov_b32_e32 v4, 0
.Ltmp16:
	.loc	1 10 26                         ; persistent_matmul.py:10:26 @[ persistent_matmul.py:44:88 ]
	v_readfirstlane_b32 s31, v2
	s_mul_i32 s19, s19, s31
	s_mul_hi_u32 s19, s31, s19
	s_add_i32 s31, s31, s19
	s_mul_hi_u32 s19, s18, s31
	s_mul_i32 s22, s19, s29
	s_sub_i32 s22, s18, s22
	s_add_i32 s23, s19, 1
	s_sub_i32 s25, s22, s29
	s_cmp_ge_u32 s22, s29
	s_cselect_b32 s19, s23, s19
	s_cselect_b32 s22, s25, s22
	s_add_i32 s23, s19, 1
	s_cmp_ge_u32 s22, s29
	s_cselect_b32 s19, s23, s19
	s_xor_b32 s19, s19, s1
	s_sub_i32 s1, s19, s1
	.loc	1 11 29                         ; persistent_matmul.py:11:29 @[ persistent_matmul.py:44:88 ]
	s_lshl_b32 s19, s1, 3
	.loc	1 12 35                         ; persistent_matmul.py:12:35 @[ persistent_matmul.py:44:88 ]
	s_sub_i32 s22, s26, s19
	.loc	1 12 48 is_stmt 0               ; persistent_matmul.py:12:48 @[ persistent_matmul.py:44:88 ]
	s_min_i32 s23, s22, 8
	.loc	1 13 37 is_stmt 1               ; persistent_matmul.py:13:37 @[ persistent_matmul.py:44:88 ]
	s_abs_i32 s22, s23
	v_cvt_f32_u32_e32 v2, s22
	s_sub_i32 s25, 0, s22
	.loc	1 14 23                         ; persistent_matmul.py:14:23 @[ persistent_matmul.py:44:88 ]
	s_mul_i32 s1, s1, s28
	.loc	1 13 37                         ; persistent_matmul.py:13:37 @[ persistent_matmul.py:44:88 ]
	v_rcp_iflag_f32_e32 v3, v2
.Ltmp17:
	.loc	1 40 35                         ; persistent_matmul.py:40:35
	v_or_b32_e32 v2, s24, v45
	.loc	1 47 41                         ; persistent_matmul.py:47:41
	v_lshrrev_b32_e32 v47, 4, v2
.Ltmp18:
	.loc	1 13 37                         ; persistent_matmul.py:13:37 @[ persistent_matmul.py:44:88 ]
	v_mul_f32_e32 v3, 0x4f7ffffe, v3
	v_cvt_u32_f32_e32 v3, v3
	s_nop 0
	v_readfirstlane_b32 s37, v3
	s_mul_i32 s25, s25, s37
	s_mul_hi_u32 s25, s37, s25
	s_add_i32 s37, s37, s25
	s_mul_hi_u32 s25, s18, s37
	s_mul_i32 s25, s25, s22
	s_sub_i32 s18, s18, s25
	s_sub_i32 s25, s18, s22
	s_cmp_ge_u32 s18, s22
	s_cselect_b32 s18, s25, s18
	s_sub_i32 s25, s18, s22
	s_cmp_ge_u32 s18, s22
	s_cselect_b32 s18, s25, s18
	s_xor_b32 s18, s18, s0
	s_sub_i32 s0, s18, s0
	.loc	1 13 27 is_stmt 0               ; persistent_matmul.py:13:27 @[ persistent_matmul.py:44:88 ]
	s_add_i32 s19, s19, s0
.Ltmp19:
	.loc	1 45 26 is_stmt 1               ; persistent_matmul.py:45:26
	s_lshl_b32 s44, s19, 6
	.loc	1 47 28                         ; persistent_matmul.py:47:28
	v_or_b32_e32 v3, s44, v47
	.loc	1 49 37                         ; persistent_matmul.py:49:37
	v_cmp_gt_i32_e32 vcc, s8, v3
.Ltmp20:
	.loc	1 14 23                         ; persistent_matmul.py:14:23 @[ persistent_matmul.py:44:88 ]
	s_sub_i32 s25, s16, s1
.Ltmp21:
	.loc	1 49 49                         ; persistent_matmul.py:49:49
	s_nop 0
	v_cndmask_b32_e32 v3, 0, v3, vcc
	.loc	1 60 64                         ; persistent_matmul.py:60:64
	v_cmp_gt_i32_e32 vcc, s10, v46
	.loc	1 57 49                         ; persistent_matmul.py:57:49
	v_mul_lo_u32 v51, v3, s11
	.loc	1 43 59                         ; persistent_matmul.py:43:59
	s_and_b64 s[0:1], vcc, s[20:21]
	v_mov_b32_e32 v3, 0
	.loc	1 60 24                         ; persistent_matmul.py:60:24
	s_and_saveexec_b64 s[18:19], s[0:1]
	s_cbranch_execz .LBB0_3
; %bb.2:
	.loc	1 0 24 is_stmt 0                ; persistent_matmul.py:0:24
	v_add_u32_e32 v4, v51, v7
	v_ashrrev_i32_e32 v5, 31, v4
	v_lshl_add_u64 v[4:5], v[4:5], 2, s[2:3]
	.loc	1 60 24                         ; persistent_matmul.py:60:24
	global_load_dword v4, v[4:5], off
.LBB0_3:
	.loc	1 0 24                          ; persistent_matmul.py:0:24
	s_or_b64 exec, exec, s[18:19]
	.loc	1 47 41 is_stmt 1               ; persistent_matmul.py:47:41
	v_or_b32_e32 v48, 16, v47
	.loc	1 47 28 is_stmt 0               ; persistent_matmul.py:47:28
	v_or_b32_e32 v5, s44, v48
	.loc	1 49 37 is_stmt 1               ; persistent_matmul.py:49:37
	v_cmp_gt_i32_e32 vcc, s8, v5
	s_abs_i32 s36, s25
	.loc	1 49 49 is_stmt 0               ; persistent_matmul.py:49:49
	s_nop 0
	v_cndmask_b32_e32 v5, 0, v5, vcc
	.loc	1 57 49 is_stmt 1               ; persistent_matmul.py:57:49
	v_mul_lo_u32 v54, v5, s11
	.loc	1 60 24                         ; persistent_matmul.py:60:24
	s_and_saveexec_b64 s[18:19], s[0:1]
	s_cbranch_execz .LBB0_5
; %bb.4:
	.loc	1 57 61                         ; persistent_matmul.py:57:61
	v_add_u32_e32 v8, v54, v7
	.loc	1 57 30 is_stmt 0               ; persistent_matmul.py:57:30
	v_ashrrev_i32_e32 v9, 31, v8
	v_lshl_add_u64 v[8:9], v[8:9], 2, s[2:3]
	.loc	1 60 24 is_stmt 1               ; persistent_matmul.py:60:24
	global_load_dword v3, v[8:9], off
.LBB0_5:
	.loc	1 0 24 is_stmt 0                ; persistent_matmul.py:0:24
	s_or_b64 exec, exec, s[18:19]
	.loc	1 47 41 is_stmt 1               ; persistent_matmul.py:47:41
	v_or_b32_e32 v49, 32, v47
	.loc	1 47 28 is_stmt 0               ; persistent_matmul.py:47:28
	v_or_b32_e32 v5, s44, v49
	.loc	1 49 37 is_stmt 1               ; persistent_matmul.py:49:37
	v_cmp_gt_i32_e32 vcc, s8, v5
	s_mul_hi_u32 s37, s36, s37
	v_mov_b32_e32 v6, 0
	.loc	1 49 49 is_stmt 0               ; persistent_matmul.py:49:49
	v_cndmask_b32_e32 v5, 0, v5, vcc
	.loc	1 57 49 is_stmt 1               ; persistent_matmul.py:57:49
	v_mul_lo_u32 v55, v5, s11
	v_mov_b32_e32 v5, 0
	.loc	1 60 24                         ; persistent_matmul.py:60:24
	s_and_saveexec_b64 s[18:19], s[0:1]
	s_cbranch_execz .LBB0_7
; %bb.6:
	.loc	1 57 61                         ; persistent_matmul.py:57:61
	v_add_u32_e32 v8, v55, v7
	.loc	1 57 30 is_stmt 0               ; persistent_matmul.py:57:30
	v_ashrrev_i32_e32 v9, 31, v8
	v_lshl_add_u64 v[8:9], v[8:9], 2, s[2:3]
	.loc	1 60 24 is_stmt 1               ; persistent_matmul.py:60:24
	global_load_dword v6, v[8:9], off
.LBB0_7:
	.loc	1 0 24 is_stmt 0                ; persistent_matmul.py:0:24
	s_or_b64 exec, exec, s[18:19]
	.loc	1 47 41 is_stmt 1               ; persistent_matmul.py:47:41
	v_or_b32_e32 v50, 48, v47
	.loc	1 47 28 is_stmt 0               ; persistent_matmul.py:47:28
	v_or_b32_e32 v8, s44, v50
	.loc	1 49 37 is_stmt 1               ; persistent_matmul.py:49:37
	v_cmp_gt_i32_e32 vcc, s8, v8
	s_ashr_i32 s23, s23, 31
	s_ashr_i32 s25, s25, 31
	.loc	1 49 49 is_stmt 0               ; persistent_matmul.py:49:49
	v_cndmask_b32_e32 v8, 0, v8, vcc
	.loc	1 57 49 is_stmt 1               ; persistent_matmul.py:57:49
	v_mul_lo_u32 v56, v8, s11
	.loc	1 60 24                         ; persistent_matmul.py:60:24
	s_and_saveexec_b64 s[18:19], s[0:1]
	s_cbranch_execz .LBB0_9
; %bb.8:
	.loc	1 57 61                         ; persistent_matmul.py:57:61
	v_add_u32_e32 v8, v56, v7
	.loc	1 57 30 is_stmt 0               ; persistent_matmul.py:57:30
	v_ashrrev_i32_e32 v9, 31, v8
	v_lshl_add_u64 v[8:9], v[8:9], 2, s[2:3]
	.loc	1 60 24 is_stmt 1               ; persistent_matmul.py:60:24
	global_load_dword v5, v[8:9], off
.LBB0_9:
	.loc	1 0 24 is_stmt 0                ; persistent_matmul.py:0:24
	s_or_b64 exec, exec, s[18:19]
.Ltmp22:
	.loc	1 14 44 is_stmt 1               ; persistent_matmul.py:14:44 @[ persistent_matmul.py:44:88 ]
	s_mul_i32 s1, s37, s22
	s_sub_i32 s1, s36, s1
	s_xor_b32 s0, s25, s23
	s_add_i32 s18, s37, 1
	s_sub_i32 s19, s1, s22
	s_cmp_ge_u32 s1, s22
	s_cselect_b32 s18, s18, s37
	s_cselect_b32 s1, s19, s1
	s_add_i32 s19, s18, 1
	s_cmp_ge_u32 s1, s22
	s_cselect_b32 s1, s19, s18
	s_xor_b32 s1, s1, s0
	s_sub_i32 s0, s1, s0
.Ltmp23:
	.loc	1 46 26                         ; persistent_matmul.py:46:26
	s_lshl_b32 s42, s0, 6
	.loc	1 40 35                         ; persistent_matmul.py:40:35
	s_lshr_b32 s36, s24, 6
	.loc	1 48 28                         ; persistent_matmul.py:48:28
	v_or_b32_e32 v7, s42, v45
	.loc	1 61 64                         ; persistent_matmul.py:61:64
	s_cmp_ge_i32 s36, s10
	.loc	1 50 37                         ; persistent_matmul.py:50:37
	v_cmp_gt_i32_e32 vcc, s9, v7
	.loc	1 61 64                         ; persistent_matmul.py:61:64
	s_cselect_b64 s[0:1], -1, 0
	.loc	1 43 59                         ; persistent_matmul.py:43:59
	s_xor_b64 s[22:23], s[20:21], -1
	.loc	1 50 49                         ; persistent_matmul.py:50:49
	v_cndmask_b32_e32 v7, 0, v7, vcc
	.loc	1 61 24                         ; persistent_matmul.py:61:24
	s_or_b64 s[0:1], s[22:23], s[0:1]
	.loc	1 58 79                         ; persistent_matmul.py:58:79
	v_mul_lo_u32 v57, v7, s14
	.loc	1 61 24                         ; persistent_matmul.py:61:24
	s_and_b64 vcc, exec, s[0:1]
	s_cbranch_vccnz .LBB0_11
; %bb.10:
	.loc	1 0 24 is_stmt 0                ; persistent_matmul.py:0:24
	s_mul_i32 s0, s36, s13
	v_add_u32_e32 v8, s0, v57
	v_ashrrev_i32_e32 v9, 31, v8
	v_lshl_add_u64 v[8:9], v[8:9], 2, s[4:5]
	.loc	1 61 24                         ; persistent_matmul.py:61:24
	global_load_dword v7, v[8:9], off
	s_branch .LBB0_12
.LBB0_11:
	.loc	1 0 24                          ; persistent_matmul.py:0:24
	v_mov_b32_e32 v7, 0
.LBB0_12:
	.loc	1 40 35 is_stmt 1               ; persistent_matmul.py:40:35
	s_or_b32 s37, s36, 4
	.loc	1 61 64                         ; persistent_matmul.py:61:64
	s_cmp_ge_i32 s37, s10
	s_cselect_b64 s[0:1], -1, 0
	.loc	1 61 24 is_stmt 0               ; persistent_matmul.py:61:24
	s_or_b64 s[0:1], s[22:23], s[0:1]
	s_and_b64 vcc, exec, s[0:1]
	s_cbranch_vccnz .LBB0_14
; %bb.13:
	.loc	1 58 48 is_stmt 1               ; persistent_matmul.py:58:48
	s_mul_i32 s0, s37, s13
	.loc	1 58 60 is_stmt 0               ; persistent_matmul.py:58:60
	v_add_u32_e32 v8, s0, v57
	.loc	1 58 30                         ; persistent_matmul.py:58:30
	v_ashrrev_i32_e32 v9, 31, v8
	v_lshl_add_u64 v[8:9], v[8:9], 2, s[4:5]
	.loc	1 61 24 is_stmt 1               ; persistent_matmul.py:61:24
	global_load_dword v8, v[8:9], off
	s_branch .LBB0_15
.LBB0_14:
	.loc	1 0 24 is_stmt 0                ; persistent_matmul.py:0:24
	v_mov_b32_e32 v8, 0
.LBB0_15:
	.loc	1 40 35 is_stmt 1               ; persistent_matmul.py:40:35
	s_or_b32 s38, s36, 8
	.loc	1 61 64                         ; persistent_matmul.py:61:64
	s_cmp_ge_i32 s38, s10
	s_cselect_b64 s[0:1], -1, 0
	.loc	1 61 24 is_stmt 0               ; persistent_matmul.py:61:24
	s_or_b64 s[0:1], s[22:23], s[0:1]
	s_and_b64 vcc, exec, s[0:1]
	s_cbranch_vccnz .LBB0_17
; %bb.16:
	.loc	1 58 48 is_stmt 1               ; persistent_matmul.py:58:48
	s_mul_i32 s0, s38, s13
	.loc	1 58 60 is_stmt 0               ; persistent_matmul.py:58:60
	v_add_u32_e32 v10, s0, v57
	.loc	1 58 30                         ; persistent_matmul.py:58:30
	v_ashrrev_i32_e32 v11, 31, v10
	v_lshl_add_u64 v[10:11], v[10:11], 2, s[4:5]
	.loc	1 61 24 is_stmt 1               ; persistent_matmul.py:61:24
	global_load_dword v9, v[10:11], off
	s_branch .LBB0_18
.LBB0_17:
	.loc	1 0 24 is_stmt 0                ; persistent_matmul.py:0:24
	v_mov_b32_e32 v9, 0
.LBB0_18:
	;; [unrolled: 24-line block ×3, first 2 shown]
	.loc	1 60 24 is_stmt 1               ; persistent_matmul.py:60:24
	v_lshlrev_b32_e32 v2, 2, v2
	s_lshr_b32 s0, s24, 4
	.loc	1 43 59                         ; persistent_matmul.py:43:59
	s_add_i32 s35, s35, -1
	.loc	1 60 24                         ; persistent_matmul.py:60:24
	v_xor_b32_e32 v11, s0, v2
	.loc	1 43 59                         ; persistent_matmul.py:43:59
	s_add_i32 s43, s41, -1
	.loc	1 60 24                         ; persistent_matmul.py:60:24
	s_mov_b32 s24, 0
	v_add_u32_e32 v52, 0, v11
	.loc	1 61 24                         ; persistent_matmul.py:61:24
	v_add_u32_e32 v53, 0, v2
	.loc	1 43 59                         ; persistent_matmul.py:43:59
	s_cmp_lt_i32 s43, 1
	.loc	1 60 24                         ; persistent_matmul.py:60:24
	s_waitcnt vmcnt(0)
	ds_write2st64_b32 v52, v4, v3 offset1:4
	ds_write2st64_b32 v52, v6, v5 offset0:8 offset1:12
	.loc	1 61 24                         ; persistent_matmul.py:61:24
	ds_write2st64_b32 v53, v7, v8 offset0:16 offset1:20
	ds_write2st64_b32 v53, v9, v10 offset0:24 offset1:28
	.loc	1 43 59                         ; persistent_matmul.py:43:59
	s_cbranch_scc1 .LBB0_24
; %bb.22:                               ; %.lr.ph
	s_cmp_lg_u32 s35, 0
	s_cselect_b64 s[0:1], -1, 0
	s_cmp_eq_u32 s35, 0
	s_mov_b32 s45, 0
	s_cselect_b64 s[18:19], -1, 0
	s_and_b64 vcc, exec, s[0:1]
	s_cbranch_vccnz .LBB0_25
; %bb.23:
	s_add_i32 s40, s16, 0x68
.Ltmp24:
	.loc	1 10 26                         ; persistent_matmul.py:10:26 @[ persistent_matmul.py:44:88 ]
	s_abs_i32 s46, s40
	s_mul_hi_u32 s47, s46, s31
	s_mul_i32 s48, s47, s29
	s_ashr_i32 s24, s40, 31
	s_sub_i32 s48, s46, s48
	s_xor_b32 s25, s24, s30
	s_add_i32 s49, s47, 1
	s_sub_i32 s50, s48, s29
	s_cmp_ge_u32 s48, s29
	s_cselect_b32 s47, s49, s47
	s_cselect_b32 s48, s50, s48
	s_add_i32 s49, s47, 1
	s_cmp_ge_u32 s48, s29
	s_cselect_b32 s47, s49, s47
	s_xor_b32 s47, s47, s25
	s_sub_i32 s25, s47, s25
	.loc	1 11 29                         ; persistent_matmul.py:11:29 @[ persistent_matmul.py:44:88 ]
	s_lshl_b32 s47, s25, 3
	.loc	1 12 35                         ; persistent_matmul.py:12:35 @[ persistent_matmul.py:44:88 ]
	s_sub_i32 s48, s26, s47
	.loc	1 12 48 is_stmt 0               ; persistent_matmul.py:12:48 @[ persistent_matmul.py:44:88 ]
	s_min_i32 s48, s48, 8
	.loc	1 13 37 is_stmt 1               ; persistent_matmul.py:13:37 @[ persistent_matmul.py:44:88 ]
	s_abs_i32 s49, s48
	v_cvt_f32_u32_e32 v2, s49
	s_sub_i32 s50, 0, s49
	.loc	1 14 23                         ; persistent_matmul.py:14:23 @[ persistent_matmul.py:44:88 ]
	s_mul_i32 s25, s25, s28
	.loc	1 13 37                         ; persistent_matmul.py:13:37 @[ persistent_matmul.py:44:88 ]
	v_rcp_iflag_f32_e32 v2, v2
	s_nop 0
	v_mul_f32_e32 v2, 0x4f7ffffe, v2
	v_cvt_u32_f32_e32 v2, v2
	s_nop 0
	v_readfirstlane_b32 s51, v2
	s_mul_i32 s50, s50, s51
	s_mul_hi_u32 s50, s51, s50
	s_add_i32 s51, s51, s50
	s_mul_hi_u32 s50, s46, s51
	s_mul_i32 s50, s50, s49
	s_sub_i32 s46, s46, s50
	s_sub_i32 s50, s46, s49
	s_cmp_ge_u32 s46, s49
	s_cselect_b32 s46, s50, s46
	s_sub_i32 s50, s46, s49
	s_cmp_ge_u32 s46, s49
	s_cselect_b32 s46, s50, s46
	s_xor_b32 s46, s46, s24
	.loc	1 14 23                         ; persistent_matmul.py:14:23 @[ persistent_matmul.py:44:88 ]
	s_sub_i32 s25, s40, s25
	.loc	1 13 37                         ; persistent_matmul.py:13:37 @[ persistent_matmul.py:44:88 ]
	s_sub_i32 s24, s46, s24
	.loc	1 13 27 is_stmt 0               ; persistent_matmul.py:13:27 @[ persistent_matmul.py:44:88 ]
	s_add_i32 s47, s47, s24
	.loc	1 14 44 is_stmt 1               ; persistent_matmul.py:14:44 @[ persistent_matmul.py:44:88 ]
	s_abs_i32 s24, s25
	s_xor_b32 s48, s25, s48
	s_mul_hi_u32 s25, s24, s51
	s_ashr_i32 s46, s48, 31
	s_mul_i32 s48, s25, s49
	s_sub_i32 s24, s24, s48
	s_add_i32 s48, s25, 1
	s_sub_i32 s50, s24, s49
	s_cmp_ge_u32 s24, s49
	s_cselect_b32 s25, s48, s25
	s_cselect_b32 s24, s50, s24
	s_add_i32 s48, s25, 1
	s_cmp_ge_u32 s24, s49
	s_cselect_b32 s24, s48, s25
.Ltmp25:
	.loc	1 45 26                         ; persistent_matmul.py:45:26
	s_lshl_b32 s25, s47, 6
	.loc	1 47 28                         ; persistent_matmul.py:47:28
	v_or_b32_e32 v2, s25, v47
	v_or_b32_e32 v3, s25, v48
	.loc	1 49 37                         ; persistent_matmul.py:49:37
	v_cmp_gt_i32_e32 vcc, s8, v2
.Ltmp26:
	.loc	1 14 44                         ; persistent_matmul.py:14:44 @[ persistent_matmul.py:44:88 ]
	s_xor_b32 s24, s24, s46
.Ltmp27:
	.loc	1 47 28                         ; persistent_matmul.py:47:28
	v_or_b32_e32 v4, s25, v49
	.loc	1 49 49                         ; persistent_matmul.py:49:49
	v_cndmask_b32_e32 v2, 0, v2, vcc
	.loc	1 49 37 is_stmt 0               ; persistent_matmul.py:49:37
	v_cmp_gt_i32_e32 vcc, s8, v3
.Ltmp28:
	.loc	1 14 44 is_stmt 1               ; persistent_matmul.py:14:44 @[ persistent_matmul.py:44:88 ]
	s_sub_i32 s24, s24, s46
.Ltmp29:
	.loc	1 47 28                         ; persistent_matmul.py:47:28
	v_or_b32_e32 v5, s25, v50
	.loc	1 49 49                         ; persistent_matmul.py:49:49
	v_cndmask_b32_e32 v3, 0, v3, vcc
	.loc	1 49 37 is_stmt 0               ; persistent_matmul.py:49:37
	v_cmp_gt_i32_e32 vcc, s8, v4
	.loc	1 48 28 is_stmt 1               ; persistent_matmul.py:48:28
	v_lshl_or_b32 v6, s24, 6, v45
	.loc	1 57 49                         ; persistent_matmul.py:57:49
	v_mul_lo_u32 v51, v2, s11
	.loc	1 49 49                         ; persistent_matmul.py:49:49
	v_cndmask_b32_e32 v4, 0, v4, vcc
	.loc	1 49 37 is_stmt 0               ; persistent_matmul.py:49:37
	v_cmp_gt_i32_e32 vcc, s8, v5
	.loc	1 57 49 is_stmt 1               ; persistent_matmul.py:57:49
	v_mul_lo_u32 v54, v3, s11
	v_mul_lo_u32 v55, v4, s11
	.loc	1 49 49                         ; persistent_matmul.py:49:49
	v_cndmask_b32_e32 v5, 0, v5, vcc
	.loc	1 50 37                         ; persistent_matmul.py:50:37
	v_cmp_gt_i32_e32 vcc, s9, v6
	.loc	1 57 49                         ; persistent_matmul.py:57:49
	v_mul_lo_u32 v56, v5, s11
	.loc	1 50 49                         ; persistent_matmul.py:50:49
	s_nop 0
	v_cndmask_b32_e32 v6, 0, v6, vcc
	.loc	1 58 79                         ; persistent_matmul.py:58:79
	v_mul_lo_u32 v57, v6, s14
	s_branch .LBB0_26
.LBB0_24:
	.loc	1 0 79 is_stmt 0                ; persistent_matmul.py:0:79
	v_mov_b32_e32 v17, 0
	v_mov_b32_e32 v16, v17
	;; [unrolled: 1-line block ×16, first 2 shown]
	s_mov_b32 s0, s16
	.loc	1 43 59 is_stmt 1               ; persistent_matmul.py:43:59
	s_branch .LBB0_135
.LBB0_25:
	.loc	1 0 59 is_stmt 0                ; persistent_matmul.py:0:59
	s_mov_b32 s45, 16
	s_mov_b32 s40, s16
.LBB0_26:
	.loc	1 56 41 is_stmt 1               ; persistent_matmul.py:56:41
	v_or_b32_e32 v2, s45, v46
	.loc	1 60 68                         ; persistent_matmul.py:60:68
	s_sub_i32 s46, s10, s45
	.loc	1 57 79                         ; persistent_matmul.py:57:79
	v_mul_lo_u32 v2, v2, s12
	.loc	1 60 64                         ; persistent_matmul.py:60:64
	v_cmp_gt_i32_e32 vcc, s46, v46
	v_mov_b32_e32 v61, 0
	v_mov_b32_e32 v62, 0
	.loc	1 60 24 is_stmt 0               ; persistent_matmul.py:60:24
	s_and_saveexec_b64 s[24:25], vcc
	s_cbranch_execz .LBB0_28
; %bb.27:
	.loc	1 0 24                          ; persistent_matmul.py:0:24
	v_add_u32_e32 v4, v51, v2
	v_ashrrev_i32_e32 v5, 31, v4
	v_lshl_add_u64 v[4:5], v[4:5], 2, s[2:3]
	.loc	1 60 24                         ; persistent_matmul.py:60:24
	global_load_dword v62, v[4:5], off
.LBB0_28:
	.loc	1 0 24                          ; persistent_matmul.py:0:24
	s_or_b64 exec, exec, s[24:25]
	.loc	1 60 24                         ; persistent_matmul.py:60:24
	s_and_saveexec_b64 s[24:25], vcc
	s_cbranch_execz .LBB0_30
; %bb.29:
	.loc	1 57 61 is_stmt 1               ; persistent_matmul.py:57:61
	v_add_u32_e32 v4, v54, v2
	.loc	1 57 30 is_stmt 0               ; persistent_matmul.py:57:30
	v_ashrrev_i32_e32 v5, 31, v4
	v_lshl_add_u64 v[4:5], v[4:5], 2, s[2:3]
	.loc	1 60 24 is_stmt 1               ; persistent_matmul.py:60:24
	global_load_dword v61, v[4:5], off
.LBB0_30:
	.loc	1 0 24 is_stmt 0                ; persistent_matmul.py:0:24
	s_or_b64 exec, exec, s[24:25]
	v_mov_b32_e32 v63, 0
	v_mov_b32_e32 v64, 0
	.loc	1 60 24                         ; persistent_matmul.py:60:24
	s_and_saveexec_b64 s[24:25], vcc
	s_cbranch_execz .LBB0_32
; %bb.31:
	.loc	1 57 61 is_stmt 1               ; persistent_matmul.py:57:61
	v_add_u32_e32 v4, v55, v2
	.loc	1 57 30 is_stmt 0               ; persistent_matmul.py:57:30
	v_ashrrev_i32_e32 v5, 31, v4
	v_lshl_add_u64 v[4:5], v[4:5], 2, s[2:3]
	.loc	1 60 24 is_stmt 1               ; persistent_matmul.py:60:24
	global_load_dword v64, v[4:5], off
.LBB0_32:
	.loc	1 0 24 is_stmt 0                ; persistent_matmul.py:0:24
	s_or_b64 exec, exec, s[24:25]
	.loc	1 60 24                         ; persistent_matmul.py:60:24
	s_and_saveexec_b64 s[24:25], vcc
	s_cbranch_execz .LBB0_34
; %bb.33:
	.loc	1 57 61 is_stmt 1               ; persistent_matmul.py:57:61
	v_add_u32_e32 v2, v56, v2
	.loc	1 57 30 is_stmt 0               ; persistent_matmul.py:57:30
	v_ashrrev_i32_e32 v3, 31, v2
	v_lshl_add_u64 v[2:3], v[2:3], 2, s[2:3]
	.loc	1 60 24 is_stmt 1               ; persistent_matmul.py:60:24
	global_load_dword v63, v[2:3], off
.LBB0_34:
	.loc	1 0 24 is_stmt 0                ; persistent_matmul.py:0:24
	s_or_b64 exec, exec, s[24:25]
	v_lshlrev_b32_e32 v2, 6, v1
	v_lshl_or_b32 v2, s33, 4, v2
	v_bitop3_b32 v3, v43, v0, 12 bitop3:0x78
	v_or_b32_e32 v4, v2, v3
	v_bitop3_b32 v2, v2, 8, v3 bitop3:0x36
	.loc	1 60 24                         ; persistent_matmul.py:60:24
	v_add_u32_e32 v58, 0, v4
	v_add_u32_e32 v59, 0, v2
	s_waitcnt lgkmcnt(0)
	s_barrier
	ds_read2_b32 v[22:23], v58 offset1:4
	ds_read2_b32 v[20:21], v58 offset0:8 offset1:12
	ds_read2_b32 v[24:25], v59 offset1:4
	ds_read2_b32 v[18:19], v59 offset0:8 offset1:12
	.loc	1 61 64 is_stmt 1               ; persistent_matmul.py:61:64
	s_cmp_ge_i32 s36, s46
	.loc	1 61 24 is_stmt 0               ; persistent_matmul.py:61:24
	s_cbranch_scc1 .LBB0_39
; %bb.35:
	.loc	1 56 41 is_stmt 1               ; persistent_matmul.py:56:41
	s_or_b32 s24, s45, s36
	.loc	1 58 48                         ; persistent_matmul.py:58:48
	s_mul_i32 s24, s24, s13
	.loc	1 58 60 is_stmt 0               ; persistent_matmul.py:58:60
	v_add_u32_e32 v2, s24, v57
	.loc	1 58 30                         ; persistent_matmul.py:58:30
	v_ashrrev_i32_e32 v3, 31, v2
	v_lshl_add_u64 v[2:3], v[2:3], 2, s[4:5]
	.loc	1 61 24 is_stmt 1               ; persistent_matmul.py:61:24
	global_load_dword v65, v[2:3], off
	.loc	1 61 64 is_stmt 0               ; persistent_matmul.py:61:64
	s_cmp_ge_i32 s37, s46
	.loc	1 61 24                         ; persistent_matmul.py:61:24
	s_cbranch_scc0 .LBB0_40
.LBB0_36:
	.loc	1 0 24                          ; persistent_matmul.py:0:24
	v_mov_b32_e32 v66, 0
	.loc	1 61 64                         ; persistent_matmul.py:61:64
	s_cmp_ge_i32 s38, s46
	.loc	1 61 24                         ; persistent_matmul.py:61:24
	s_cbranch_scc0 .LBB0_41
.LBB0_37:
	.loc	1 0 24                          ; persistent_matmul.py:0:24
	v_mov_b32_e32 v67, 0
	.loc	1 61 64                         ; persistent_matmul.py:61:64
	s_cmp_ge_i32 s39, s46
	.loc	1 61 24                         ; persistent_matmul.py:61:24
	s_cbranch_scc0 .LBB0_42
.LBB0_38:
	.loc	1 0 24                          ; persistent_matmul.py:0:24
	v_mov_b32_e32 v68, 0
	.loc	1 61 24                         ; persistent_matmul.py:61:24
	s_branch .LBB0_43
.LBB0_39:
	.loc	1 0 24                          ; persistent_matmul.py:0:24
	v_mov_b32_e32 v65, 0
	.loc	1 61 64                         ; persistent_matmul.py:61:64
	s_cmp_ge_i32 s37, s46
	.loc	1 61 24                         ; persistent_matmul.py:61:24
	s_cbranch_scc1 .LBB0_36
.LBB0_40:
	.loc	1 56 41 is_stmt 1               ; persistent_matmul.py:56:41
	s_or_b32 s24, s45, s37
	.loc	1 58 48                         ; persistent_matmul.py:58:48
	s_mul_i32 s24, s24, s13
	.loc	1 58 60 is_stmt 0               ; persistent_matmul.py:58:60
	v_add_u32_e32 v2, s24, v57
	.loc	1 58 30                         ; persistent_matmul.py:58:30
	v_ashrrev_i32_e32 v3, 31, v2
	v_lshl_add_u64 v[2:3], v[2:3], 2, s[4:5]
	.loc	1 61 24 is_stmt 1               ; persistent_matmul.py:61:24
	global_load_dword v66, v[2:3], off
	.loc	1 61 64 is_stmt 0               ; persistent_matmul.py:61:64
	s_cmp_ge_i32 s38, s46
	.loc	1 61 24                         ; persistent_matmul.py:61:24
	s_cbranch_scc1 .LBB0_37
.LBB0_41:
	.loc	1 56 41 is_stmt 1               ; persistent_matmul.py:56:41
	s_or_b32 s24, s45, s38
	.loc	1 58 48                         ; persistent_matmul.py:58:48
	s_mul_i32 s24, s24, s13
	.loc	1 58 60 is_stmt 0               ; persistent_matmul.py:58:60
	v_add_u32_e32 v2, s24, v57
	.loc	1 58 30                         ; persistent_matmul.py:58:30
	v_ashrrev_i32_e32 v3, 31, v2
	v_lshl_add_u64 v[2:3], v[2:3], 2, s[4:5]
	.loc	1 61 24 is_stmt 1               ; persistent_matmul.py:61:24
	global_load_dword v67, v[2:3], off
	.loc	1 61 64 is_stmt 0               ; persistent_matmul.py:61:64
	s_cmp_ge_i32 s39, s46
	.loc	1 61 24                         ; persistent_matmul.py:61:24
	s_cbranch_scc1 .LBB0_38
.LBB0_42:
	.loc	1 56 41 is_stmt 1               ; persistent_matmul.py:56:41
	s_or_b32 s24, s45, s39
	.loc	1 58 48                         ; persistent_matmul.py:58:48
	s_mul_i32 s24, s24, s13
	.loc	1 58 60 is_stmt 0               ; persistent_matmul.py:58:60
	v_add_u32_e32 v2, s24, v57
	.loc	1 58 30                         ; persistent_matmul.py:58:30
	v_ashrrev_i32_e32 v3, 31, v2
	v_lshl_add_u64 v[2:3], v[2:3], 2, s[4:5]
	.loc	1 61 24 is_stmt 1               ; persistent_matmul.py:61:24
	global_load_dword v68, v[2:3], off
.LBB0_43:
	s_lshl1_add_u32 s24, s34, 0
	v_lshlrev_b32_e32 v2, 2, v1
	v_lshl_add_u32 v3, v44, 3, s24
	v_add_u32_e32 v60, v3, v2
	ds_read2st64_b32 v[70:71], v60 offset0:16 offset1:18
	.loc	1 43 59                         ; persistent_matmul.py:43:59
	s_andn2_b64 vcc, exec, s[18:19]
	.loc	1 62 39                         ; persistent_matmul.py:62:39
	s_waitcnt lgkmcnt(0)
	v_mfma_f32_32x32x2_f32 v[2:17], v70, v22, 0
	v_mfma_f32_32x32x2_f32 v[2:17], v71, v24, v[2:17]
	.loc	1 61 24                         ; persistent_matmul.py:61:24
	ds_read2st64_b32 v[70:71], v60 offset0:20 offset1:22
	.loc	1 62 39                         ; persistent_matmul.py:62:39
	s_waitcnt lgkmcnt(0)
	v_mfma_f32_32x32x2_f32 v[2:17], v70, v23, v[2:17]
	.loc	1 61 24                         ; persistent_matmul.py:61:24
	ds_read2st64_b32 v[22:23], v60 offset0:24 offset1:26
	.loc	1 62 39                         ; persistent_matmul.py:62:39
	v_mfma_f32_32x32x2_f32 v[2:17], v71, v25, v[2:17]
	s_waitcnt lgkmcnt(0)
	v_mfma_f32_32x32x2_f32 v[2:17], v22, v20, v[2:17]
	v_mfma_f32_32x32x2_f32 v[2:17], v23, v18, v[2:17]
	.loc	1 61 24                         ; persistent_matmul.py:61:24
	ds_read2st64_b32 v[22:23], v60 offset0:28 offset1:30
	.loc	1 62 39                         ; persistent_matmul.py:62:39
	s_waitcnt lgkmcnt(0)
	v_mfma_f32_32x32x2_f32 v[2:17], v22, v21, v[2:17]
	v_mfma_f32_32x32x2_f32 v[2:17], v23, v19, v[2:17]
	.loc	1 43 59                         ; persistent_matmul.py:43:59
	s_cbranch_vccnz .LBB0_77
; %bb.44:
	.loc	1 66 41                         ; persistent_matmul.py:66:41
	v_or_b32_e32 v21, s44, v26
	.loc	1 67 41                         ; persistent_matmul.py:67:41
	v_or_b32_e32 v20, s42, v27
	.loc	1 68 37                         ; persistent_matmul.py:68:37
	v_mul_lo_u32 v18, v21, s15
	.loc	1 68 25 is_stmt 0               ; persistent_matmul.py:68:25
	v_ashrrev_i32_e32 v19, 31, v18
	.loc	1 69 37 is_stmt 1               ; persistent_matmul.py:69:37
	v_cmp_gt_i32_e32 vcc, s8, v21
	.loc	1 69 62 is_stmt 0               ; persistent_matmul.py:69:62
	v_cmp_gt_i32_e64 s[18:19], s9, v20
	.loc	1 68 25 is_stmt 1               ; persistent_matmul.py:68:25
	v_lshl_add_u64 v[18:19], v[18:19], 2, s[6:7]
	.loc	1 69 43                         ; persistent_matmul.py:69:43
	s_and_b64 s[24:25], vcc, s[18:19]
	.loc	1 74 25                         ; persistent_matmul.py:74:25
	s_and_saveexec_b64 s[18:19], s[24:25]
	s_cbranch_execz .LBB0_46
; %bb.45:
	.loc	1 0 25 is_stmt 0                ; persistent_matmul.py:0:25
	v_mul_lo_u32 v20, v20, s17
	v_ashrrev_i32_e32 v21, 31, v20
	v_lshl_add_u64 v[20:21], v[20:21], 2, v[18:19]
	.loc	1 74 25                         ; persistent_matmul.py:74:25
	s_nop 3
	global_store_dword v[20:21], v2, off
.LBB0_46:
	.loc	1 0 25                          ; persistent_matmul.py:0:25
	s_or_b64 exec, exec, s[18:19]
	.loc	1 67 41 is_stmt 1               ; persistent_matmul.py:67:41
	v_or_b32_e32 v20, s42, v28
	.loc	1 69 62                         ; persistent_matmul.py:69:62
	v_cmp_gt_i32_e64 s[18:19], s9, v20
	.loc	1 69 43 is_stmt 0               ; persistent_matmul.py:69:43
	s_and_b64 s[24:25], vcc, s[18:19]
	.loc	1 74 25 is_stmt 1               ; persistent_matmul.py:74:25
	s_and_saveexec_b64 s[18:19], s[24:25]
	s_cbranch_execz .LBB0_48
; %bb.47:
	.loc	1 68 68                         ; persistent_matmul.py:68:68
	v_mul_lo_u32 v20, v20, s17
	.loc	1 68 56 is_stmt 0               ; persistent_matmul.py:68:56
	v_ashrrev_i32_e32 v21, 31, v20
	v_lshl_add_u64 v[20:21], v[20:21], 2, v[18:19]
	.loc	1 74 25 is_stmt 1               ; persistent_matmul.py:74:25
	global_store_dword v[20:21], v3, off
.LBB0_48:
	.loc	1 0 25 is_stmt 0                ; persistent_matmul.py:0:25
	s_or_b64 exec, exec, s[18:19]
	.loc	1 67 41 is_stmt 1               ; persistent_matmul.py:67:41
	v_or_b32_e32 v20, s42, v29
	.loc	1 69 62                         ; persistent_matmul.py:69:62
	v_cmp_gt_i32_e64 s[18:19], s9, v20
	.loc	1 69 43 is_stmt 0               ; persistent_matmul.py:69:43
	s_and_b64 s[24:25], vcc, s[18:19]
	.loc	1 74 25 is_stmt 1               ; persistent_matmul.py:74:25
	s_and_saveexec_b64 s[18:19], s[24:25]
	s_cbranch_execz .LBB0_50
; %bb.49:
	.loc	1 68 68                         ; persistent_matmul.py:68:68
	v_mul_lo_u32 v20, v20, s17
	.loc	1 68 56 is_stmt 0               ; persistent_matmul.py:68:56
	v_ashrrev_i32_e32 v21, 31, v20
	v_lshl_add_u64 v[20:21], v[20:21], 2, v[18:19]
	.loc	1 74 25 is_stmt 1               ; persistent_matmul.py:74:25
	global_store_dword v[20:21], v4, off
.LBB0_50:
	.loc	1 0 25 is_stmt 0                ; persistent_matmul.py:0:25
	;; [unrolled: 20-line block ×14, first 2 shown]
	s_or_b64 exec, exec, s[18:19]
	.loc	1 67 41 is_stmt 1               ; persistent_matmul.py:67:41
	v_or_b32_e32 v20, s42, v42
	.loc	1 69 62                         ; persistent_matmul.py:69:62
	v_cmp_gt_i32_e64 s[18:19], s9, v20
	.loc	1 69 43 is_stmt 0               ; persistent_matmul.py:69:43
	s_and_b64 s[24:25], vcc, s[18:19]
	.loc	1 74 25 is_stmt 1               ; persistent_matmul.py:74:25
	s_and_saveexec_b64 s[18:19], s[24:25]
	s_cbranch_execz .LBB0_76
; %bb.75:
	.loc	1 68 68                         ; persistent_matmul.py:68:68
	v_mul_lo_u32 v20, v20, s17
	.loc	1 68 56 is_stmt 0               ; persistent_matmul.py:68:56
	v_ashrrev_i32_e32 v21, 31, v20
	v_lshl_add_u64 v[18:19], v[20:21], 2, v[18:19]
	.loc	1 74 25 is_stmt 1               ; persistent_matmul.py:74:25
	global_store_dword v[18:19], v17, off
.LBB0_76:                               ; %Flow100
	.loc	1 0 25 is_stmt 0                ; persistent_matmul.py:0:25
	s_or_b64 exec, exec, s[18:19]
	s_mov_b32 s25, s16
	s_branch .LBB0_78
.LBB0_77:
	s_add_i32 s25, s16, 0xffffff98
.LBB0_78:
	.loc	1 43 59 is_stmt 1               ; persistent_matmul.py:43:59
	v_cndmask_b32_e64 v18, 0, 1, s[0:1]
	s_nop 14
	v_cndmask_b32_e64 v2, 0, v2, s[0:1]
	v_cndmask_b32_e64 v3, 0, v3, s[0:1]
	;; [unrolled: 1-line block ×16, first 2 shown]
	v_readfirstlane_b32 s24, v18
	s_cmp_eq_u32 s43, 1
	.loc	1 60 24                         ; persistent_matmul.py:60:24
	s_waitcnt lgkmcnt(0)
	s_barrier
	s_waitcnt vmcnt(0)
	ds_write2st64_b32 v52, v62, v61 offset1:4
	ds_write2st64_b32 v52, v64, v63 offset0:8 offset1:12
	.loc	1 61 24                         ; persistent_matmul.py:61:24
	ds_write2st64_b32 v53, v65, v66 offset0:16 offset1:20
	ds_write2st64_b32 v53, v67, v68 offset0:24 offset1:28
	.loc	1 43 59                         ; persistent_matmul.py:43:59
	s_cbranch_scc1 .LBB0_134
; %bb.79:                               ; %.peel.next
	s_add_i32 s41, s41, -2
	s_mov_b32 s42, s24
	s_branch .LBB0_82
.LBB0_80:                               ; %Flow96
                                        ;   in Loop: Header=BB0_82 Depth=1
	.loc	1 0 59 is_stmt 0                ; persistent_matmul.py:0:59
	s_or_b64 exec, exec, s[0:1]
.LBB0_81:                               ;   in Loop: Header=BB0_82 Depth=1
	.loc	1 43 59 is_stmt 1               ; persistent_matmul.py:43:59
	s_add_i32 s41, s41, -1
	s_nop 15
	v_cndmask_b32_e64 v2, v2, 0, s[18:19]
	v_cndmask_b32_e64 v3, v3, 0, s[18:19]
	;; [unrolled: 1-line block ×16, first 2 shown]
	s_cmp_lg_u32 s41, 0
	.loc	1 60 24                         ; persistent_matmul.py:60:24
	s_waitcnt lgkmcnt(0)
	s_barrier
	s_waitcnt vmcnt(0)
	ds_write2st64_b32 v52, v62, v61 offset1:4
	ds_write2st64_b32 v52, v64, v63 offset0:8 offset1:12
	.loc	1 61 24                         ; persistent_matmul.py:61:24
	ds_write2st64_b32 v53, v65, v66 offset0:16 offset1:20
	ds_write2st64_b32 v53, v67, v68 offset0:24 offset1:28
	.loc	1 43 59                         ; persistent_matmul.py:43:59
	s_cbranch_scc0 .LBB0_134
.LBB0_82:                               ; =>This Inner Loop Header: Depth=1
	s_add_i32 s43, s24, 1
	s_cmp_eq_u32 s24, s35
	s_cselect_b64 s[18:19], -1, 0
	s_and_b64 s[0:1], s[18:19], exec
	s_cselect_b32 s24, 0, s43
	s_cmp_eq_u32 s24, 0
	s_cselect_b64 s[0:1], -1, 0
	s_cmp_lg_u32 s24, 0
	s_cbranch_scc1 .LBB0_84
; %bb.83:                               ;   in Loop: Header=BB0_82 Depth=1
	s_addk_i32 s40, 0x68
.Ltmp30:
	.loc	1 10 26                         ; persistent_matmul.py:10:26 @[ persistent_matmul.py:44:88 ]
	s_abs_i32 s45, s40
	s_mul_hi_u32 s46, s45, s31
	s_mul_i32 s47, s46, s29
	s_ashr_i32 s43, s40, 31
	s_sub_i32 s47, s45, s47
	s_xor_b32 s44, s43, s30
	s_add_i32 s48, s46, 1
	s_sub_i32 s49, s47, s29
	s_cmp_ge_u32 s47, s29
	s_cselect_b32 s46, s48, s46
	s_cselect_b32 s47, s49, s47
	s_add_i32 s48, s46, 1
	s_cmp_ge_u32 s47, s29
	s_cselect_b32 s46, s48, s46
	s_xor_b32 s46, s46, s44
	s_sub_i32 s44, s46, s44
	.loc	1 11 29                         ; persistent_matmul.py:11:29 @[ persistent_matmul.py:44:88 ]
	s_lshl_b32 s46, s44, 3
	.loc	1 12 35                         ; persistent_matmul.py:12:35 @[ persistent_matmul.py:44:88 ]
	s_sub_i32 s47, s26, s46
	.loc	1 12 48 is_stmt 0               ; persistent_matmul.py:12:48 @[ persistent_matmul.py:44:88 ]
	s_min_i32 s47, s47, 8
	.loc	1 13 37 is_stmt 1               ; persistent_matmul.py:13:37 @[ persistent_matmul.py:44:88 ]
	s_abs_i32 s48, s47
	v_cvt_f32_u32_e32 v18, s48
	s_sub_i32 s49, 0, s48
	.loc	1 14 23                         ; persistent_matmul.py:14:23 @[ persistent_matmul.py:44:88 ]
	s_mul_i32 s44, s44, s28
	.loc	1 13 37                         ; persistent_matmul.py:13:37 @[ persistent_matmul.py:44:88 ]
	v_rcp_iflag_f32_e32 v18, v18
	s_nop 0
	v_mul_f32_e32 v18, 0x4f7ffffe, v18
	v_cvt_u32_f32_e32 v18, v18
	s_nop 0
	v_readfirstlane_b32 s50, v18
	s_mul_i32 s49, s49, s50
	s_mul_hi_u32 s49, s50, s49
	s_add_i32 s50, s50, s49
	s_mul_hi_u32 s49, s45, s50
	s_mul_i32 s49, s49, s48
	s_sub_i32 s45, s45, s49
	s_sub_i32 s49, s45, s48
	s_cmp_ge_u32 s45, s48
	s_cselect_b32 s45, s49, s45
	s_sub_i32 s49, s45, s48
	s_cmp_ge_u32 s45, s48
	s_cselect_b32 s45, s49, s45
	s_xor_b32 s45, s45, s43
	.loc	1 14 23                         ; persistent_matmul.py:14:23 @[ persistent_matmul.py:44:88 ]
	s_sub_i32 s44, s40, s44
	.loc	1 13 37                         ; persistent_matmul.py:13:37 @[ persistent_matmul.py:44:88 ]
	s_sub_i32 s43, s45, s43
	.loc	1 13 27 is_stmt 0               ; persistent_matmul.py:13:27 @[ persistent_matmul.py:44:88 ]
	s_add_i32 s46, s46, s43
	.loc	1 14 44 is_stmt 1               ; persistent_matmul.py:14:44 @[ persistent_matmul.py:44:88 ]
	s_abs_i32 s43, s44
	s_xor_b32 s47, s44, s47
	s_mul_hi_u32 s44, s43, s50
	s_ashr_i32 s45, s47, 31
	s_mul_i32 s47, s44, s48
	s_sub_i32 s43, s43, s47
	s_add_i32 s47, s44, 1
	s_sub_i32 s49, s43, s48
	s_cmp_ge_u32 s43, s48
	s_cselect_b32 s44, s47, s44
	s_cselect_b32 s43, s49, s43
	s_add_i32 s47, s44, 1
	s_cmp_ge_u32 s43, s48
	s_cselect_b32 s43, s47, s44
.Ltmp31:
	.loc	1 45 26                         ; persistent_matmul.py:45:26
	s_lshl_b32 s44, s46, 6
	.loc	1 47 28                         ; persistent_matmul.py:47:28
	v_or_b32_e32 v18, s44, v47
	v_or_b32_e32 v19, s44, v48
	.loc	1 49 37                         ; persistent_matmul.py:49:37
	v_cmp_gt_i32_e32 vcc, s8, v18
.Ltmp32:
	.loc	1 14 44                         ; persistent_matmul.py:14:44 @[ persistent_matmul.py:44:88 ]
	s_xor_b32 s43, s43, s45
.Ltmp33:
	.loc	1 47 28                         ; persistent_matmul.py:47:28
	v_or_b32_e32 v20, s44, v49
	.loc	1 49 49                         ; persistent_matmul.py:49:49
	v_cndmask_b32_e32 v18, 0, v18, vcc
	.loc	1 49 37 is_stmt 0               ; persistent_matmul.py:49:37
	v_cmp_gt_i32_e32 vcc, s8, v19
.Ltmp34:
	.loc	1 14 44 is_stmt 1               ; persistent_matmul.py:14:44 @[ persistent_matmul.py:44:88 ]
	s_sub_i32 s43, s43, s45
.Ltmp35:
	.loc	1 47 28                         ; persistent_matmul.py:47:28
	v_or_b32_e32 v21, s44, v50
	.loc	1 49 49                         ; persistent_matmul.py:49:49
	v_cndmask_b32_e32 v19, 0, v19, vcc
	.loc	1 49 37 is_stmt 0               ; persistent_matmul.py:49:37
	v_cmp_gt_i32_e32 vcc, s8, v20
	.loc	1 48 28 is_stmt 1               ; persistent_matmul.py:48:28
	v_lshl_or_b32 v22, s43, 6, v45
	.loc	1 57 49                         ; persistent_matmul.py:57:49
	v_mul_lo_u32 v51, v18, s11
	.loc	1 49 49                         ; persistent_matmul.py:49:49
	v_cndmask_b32_e32 v20, 0, v20, vcc
	.loc	1 49 37 is_stmt 0               ; persistent_matmul.py:49:37
	v_cmp_gt_i32_e32 vcc, s8, v21
	.loc	1 57 49 is_stmt 1               ; persistent_matmul.py:57:49
	v_mul_lo_u32 v54, v19, s11
	v_mul_lo_u32 v55, v20, s11
	.loc	1 49 49                         ; persistent_matmul.py:49:49
	v_cndmask_b32_e32 v21, 0, v21, vcc
	.loc	1 50 37                         ; persistent_matmul.py:50:37
	v_cmp_gt_i32_e32 vcc, s9, v22
	.loc	1 57 49                         ; persistent_matmul.py:57:49
	v_mul_lo_u32 v56, v21, s11
	.loc	1 50 49                         ; persistent_matmul.py:50:49
	s_nop 0
	v_cndmask_b32_e32 v22, 0, v22, vcc
	.loc	1 58 79                         ; persistent_matmul.py:58:79
	v_mul_lo_u32 v57, v22, s14
.LBB0_84:                               ;   in Loop: Header=BB0_82 Depth=1
	.loc	1 43 59                         ; persistent_matmul.py:43:59
	s_add_i32 s42, s42, 1
	s_and_b64 s[0:1], s[0:1], exec
	s_cselect_b32 s42, 0, s42
	.loc	1 56 26                         ; persistent_matmul.py:56:26
	s_lshl_b32 s43, s42, 4
	.loc	1 56 41 is_stmt 0               ; persistent_matmul.py:56:41
	v_or_b32_e32 v18, s43, v46
	.loc	1 60 68 is_stmt 1               ; persistent_matmul.py:60:68
	s_sub_i32 s44, s10, s43
	.loc	1 57 79                         ; persistent_matmul.py:57:79
	v_mul_lo_u32 v18, v18, s12
	.loc	1 60 64                         ; persistent_matmul.py:60:64
	v_cmp_gt_i32_e32 vcc, s44, v46
	v_mov_b32_e32 v61, 0
	v_mov_b32_e32 v62, 0
	.loc	1 60 24 is_stmt 0               ; persistent_matmul.py:60:24
	s_and_saveexec_b64 s[0:1], vcc
	s_cbranch_execz .LBB0_86
; %bb.85:                               ;   in Loop: Header=BB0_82 Depth=1
	.loc	1 0 24                          ; persistent_matmul.py:0:24
	v_add_u32_e32 v20, v51, v18
	v_ashrrev_i32_e32 v21, 31, v20
	v_lshl_add_u64 v[20:21], v[20:21], 2, s[2:3]
	.loc	1 60 24                         ; persistent_matmul.py:60:24
	global_load_dword v62, v[20:21], off
.LBB0_86:                               ;   in Loop: Header=BB0_82 Depth=1
	.loc	1 0 24                          ; persistent_matmul.py:0:24
	s_or_b64 exec, exec, s[0:1]
	.loc	1 60 24                         ; persistent_matmul.py:60:24
	s_and_saveexec_b64 s[0:1], vcc
	s_cbranch_execz .LBB0_88
; %bb.87:                               ;   in Loop: Header=BB0_82 Depth=1
	.loc	1 57 61 is_stmt 1               ; persistent_matmul.py:57:61
	v_add_u32_e32 v20, v54, v18
	.loc	1 57 30 is_stmt 0               ; persistent_matmul.py:57:30
	v_ashrrev_i32_e32 v21, 31, v20
	v_lshl_add_u64 v[20:21], v[20:21], 2, s[2:3]
	.loc	1 60 24 is_stmt 1               ; persistent_matmul.py:60:24
	global_load_dword v61, v[20:21], off
.LBB0_88:                               ;   in Loop: Header=BB0_82 Depth=1
	.loc	1 0 24 is_stmt 0                ; persistent_matmul.py:0:24
	s_or_b64 exec, exec, s[0:1]
	v_mov_b32_e32 v63, 0
	v_mov_b32_e32 v64, 0
	.loc	1 60 24                         ; persistent_matmul.py:60:24
	s_and_saveexec_b64 s[0:1], vcc
	s_cbranch_execz .LBB0_90
; %bb.89:                               ;   in Loop: Header=BB0_82 Depth=1
	.loc	1 57 61 is_stmt 1               ; persistent_matmul.py:57:61
	v_add_u32_e32 v20, v55, v18
	.loc	1 57 30 is_stmt 0               ; persistent_matmul.py:57:30
	v_ashrrev_i32_e32 v21, 31, v20
	v_lshl_add_u64 v[20:21], v[20:21], 2, s[2:3]
	.loc	1 60 24 is_stmt 1               ; persistent_matmul.py:60:24
	global_load_dword v64, v[20:21], off
.LBB0_90:                               ;   in Loop: Header=BB0_82 Depth=1
	.loc	1 0 24 is_stmt 0                ; persistent_matmul.py:0:24
	s_or_b64 exec, exec, s[0:1]
	.loc	1 60 24                         ; persistent_matmul.py:60:24
	s_and_saveexec_b64 s[0:1], vcc
	s_cbranch_execz .LBB0_92
; %bb.91:                               ;   in Loop: Header=BB0_82 Depth=1
	.loc	1 57 61 is_stmt 1               ; persistent_matmul.py:57:61
	v_add_u32_e32 v18, v56, v18
	.loc	1 57 30 is_stmt 0               ; persistent_matmul.py:57:30
	v_ashrrev_i32_e32 v19, 31, v18
	v_lshl_add_u64 v[18:19], v[18:19], 2, s[2:3]
	.loc	1 60 24 is_stmt 1               ; persistent_matmul.py:60:24
	global_load_dword v63, v[18:19], off
.LBB0_92:                               ;   in Loop: Header=BB0_82 Depth=1
	.loc	1 0 24 is_stmt 0                ; persistent_matmul.py:0:24
	s_or_b64 exec, exec, s[0:1]
	.loc	1 60 24                         ; persistent_matmul.py:60:24
	s_waitcnt lgkmcnt(0)
	s_barrier
	ds_read2_b32 v[22:23], v58 offset1:4
	ds_read2_b32 v[20:21], v58 offset0:8 offset1:12
	ds_read2_b32 v[24:25], v59 offset1:4
	ds_read2_b32 v[18:19], v59 offset0:8 offset1:12
	.loc	1 61 64 is_stmt 1               ; persistent_matmul.py:61:64
	s_cmp_ge_i32 s36, s44
	.loc	1 61 24 is_stmt 0               ; persistent_matmul.py:61:24
	s_cbranch_scc1 .LBB0_97
; %bb.93:                               ;   in Loop: Header=BB0_82 Depth=1
	.loc	1 56 41 is_stmt 1               ; persistent_matmul.py:56:41
	s_or_b32 s0, s43, s36
	.loc	1 58 48                         ; persistent_matmul.py:58:48
	s_mul_i32 s0, s0, s13
	.loc	1 58 60 is_stmt 0               ; persistent_matmul.py:58:60
	v_add_u32_e32 v66, s0, v57
	.loc	1 58 30                         ; persistent_matmul.py:58:30
	v_ashrrev_i32_e32 v67, 31, v66
	v_lshl_add_u64 v[66:67], v[66:67], 2, s[4:5]
	.loc	1 61 24 is_stmt 1               ; persistent_matmul.py:61:24
	global_load_dword v65, v[66:67], off
	.loc	1 61 64 is_stmt 0               ; persistent_matmul.py:61:64
	s_cmp_ge_i32 s37, s44
	.loc	1 61 24                         ; persistent_matmul.py:61:24
	s_cbranch_scc0 .LBB0_98
.LBB0_94:                               ;   in Loop: Header=BB0_82 Depth=1
	.loc	1 0 24                          ; persistent_matmul.py:0:24
	v_mov_b32_e32 v66, 0
	.loc	1 61 64                         ; persistent_matmul.py:61:64
	s_cmp_ge_i32 s38, s44
	.loc	1 61 24                         ; persistent_matmul.py:61:24
	s_cbranch_scc0 .LBB0_99
.LBB0_95:                               ;   in Loop: Header=BB0_82 Depth=1
	.loc	1 0 24                          ; persistent_matmul.py:0:24
	v_mov_b32_e32 v67, 0
	.loc	1 61 64                         ; persistent_matmul.py:61:64
	s_cmp_ge_i32 s39, s44
	.loc	1 61 24                         ; persistent_matmul.py:61:24
	s_cbranch_scc0 .LBB0_100
.LBB0_96:                               ;   in Loop: Header=BB0_82 Depth=1
	.loc	1 0 24                          ; persistent_matmul.py:0:24
	v_mov_b32_e32 v68, 0
	.loc	1 61 24                         ; persistent_matmul.py:61:24
	s_branch .LBB0_101
.LBB0_97:                               ;   in Loop: Header=BB0_82 Depth=1
	.loc	1 0 24                          ; persistent_matmul.py:0:24
	v_mov_b32_e32 v65, 0
	.loc	1 61 64                         ; persistent_matmul.py:61:64
	s_cmp_ge_i32 s37, s44
	.loc	1 61 24                         ; persistent_matmul.py:61:24
	s_cbranch_scc1 .LBB0_94
.LBB0_98:                               ;   in Loop: Header=BB0_82 Depth=1
	.loc	1 56 41 is_stmt 1               ; persistent_matmul.py:56:41
	s_or_b32 s0, s43, s37
	.loc	1 58 48                         ; persistent_matmul.py:58:48
	s_mul_i32 s0, s0, s13
	.loc	1 58 60 is_stmt 0               ; persistent_matmul.py:58:60
	v_add_u32_e32 v66, s0, v57
	.loc	1 58 30                         ; persistent_matmul.py:58:30
	v_ashrrev_i32_e32 v67, 31, v66
	v_lshl_add_u64 v[66:67], v[66:67], 2, s[4:5]
	.loc	1 61 24 is_stmt 1               ; persistent_matmul.py:61:24
	global_load_dword v66, v[66:67], off
	.loc	1 61 64 is_stmt 0               ; persistent_matmul.py:61:64
	s_cmp_ge_i32 s38, s44
	.loc	1 61 24                         ; persistent_matmul.py:61:24
	s_cbranch_scc1 .LBB0_95
.LBB0_99:                               ;   in Loop: Header=BB0_82 Depth=1
	.loc	1 56 41 is_stmt 1               ; persistent_matmul.py:56:41
	s_or_b32 s0, s43, s38
	.loc	1 58 48                         ; persistent_matmul.py:58:48
	s_mul_i32 s0, s0, s13
	.loc	1 58 60 is_stmt 0               ; persistent_matmul.py:58:60
	v_add_u32_e32 v68, s0, v57
	.loc	1 58 30                         ; persistent_matmul.py:58:30
	v_ashrrev_i32_e32 v69, 31, v68
	v_lshl_add_u64 v[68:69], v[68:69], 2, s[4:5]
	.loc	1 61 24 is_stmt 1               ; persistent_matmul.py:61:24
	global_load_dword v67, v[68:69], off
	.loc	1 61 64 is_stmt 0               ; persistent_matmul.py:61:64
	s_cmp_ge_i32 s39, s44
	.loc	1 61 24                         ; persistent_matmul.py:61:24
	s_cbranch_scc1 .LBB0_96
.LBB0_100:                              ;   in Loop: Header=BB0_82 Depth=1
	.loc	1 56 41 is_stmt 1               ; persistent_matmul.py:56:41
	s_or_b32 s0, s43, s39
	.loc	1 58 48                         ; persistent_matmul.py:58:48
	s_mul_i32 s0, s0, s13
	.loc	1 58 60 is_stmt 0               ; persistent_matmul.py:58:60
	v_add_u32_e32 v68, s0, v57
	.loc	1 58 30                         ; persistent_matmul.py:58:30
	v_ashrrev_i32_e32 v69, 31, v68
	v_lshl_add_u64 v[68:69], v[68:69], 2, s[4:5]
	.loc	1 61 24 is_stmt 1               ; persistent_matmul.py:61:24
	global_load_dword v68, v[68:69], off
.LBB0_101:                              ;   in Loop: Header=BB0_82 Depth=1
	ds_read2st64_b32 v[70:71], v60 offset0:16 offset1:18
	.loc	1 43 59                         ; persistent_matmul.py:43:59
	s_andn2_b64 vcc, exec, s[18:19]
	.loc	1 62 39                         ; persistent_matmul.py:62:39
	s_waitcnt lgkmcnt(0)
	v_mfma_f32_32x32x2_f32 v[2:17], v70, v22, v[2:17]
	v_mfma_f32_32x32x2_f32 v[2:17], v71, v24, v[2:17]
	.loc	1 61 24                         ; persistent_matmul.py:61:24
	ds_read2st64_b32 v[70:71], v60 offset0:20 offset1:22
	.loc	1 62 39                         ; persistent_matmul.py:62:39
	s_waitcnt lgkmcnt(0)
	v_mfma_f32_32x32x2_f32 v[2:17], v70, v23, v[2:17]
	.loc	1 61 24                         ; persistent_matmul.py:61:24
	ds_read2st64_b32 v[22:23], v60 offset0:24 offset1:26
	.loc	1 62 39                         ; persistent_matmul.py:62:39
	v_mfma_f32_32x32x2_f32 v[2:17], v71, v25, v[2:17]
	s_waitcnt lgkmcnt(0)
	v_mfma_f32_32x32x2_f32 v[2:17], v22, v20, v[2:17]
	v_mfma_f32_32x32x2_f32 v[2:17], v23, v18, v[2:17]
	.loc	1 61 24                         ; persistent_matmul.py:61:24
	ds_read2st64_b32 v[22:23], v60 offset0:28 offset1:30
	.loc	1 62 39                         ; persistent_matmul.py:62:39
	s_waitcnt lgkmcnt(0)
	v_mfma_f32_32x32x2_f32 v[2:17], v22, v21, v[2:17]
	v_mfma_f32_32x32x2_f32 v[2:17], v23, v19, v[2:17]
	.loc	1 43 59                         ; persistent_matmul.py:43:59
	s_cbranch_vccnz .LBB0_81
; %bb.102:                              ;   in Loop: Header=BB0_82 Depth=1
	.loc	1 64 21                         ; persistent_matmul.py:64:21
	s_addk_i32 s25, 0x68
.Ltmp36:
	.loc	1 10 26                         ; persistent_matmul.py:10:26 @[ persistent_matmul.py:65:90 ]
	s_abs_i32 s43, s25
	s_mul_hi_u32 s44, s43, s31
	s_mul_i32 s45, s44, s29
	s_ashr_i32 s0, s25, 31
	s_sub_i32 s45, s43, s45
	s_xor_b32 s1, s0, s30
	s_add_i32 s46, s44, 1
	s_sub_i32 s47, s45, s29
	s_cmp_ge_u32 s45, s29
	s_cselect_b32 s44, s46, s44
	s_cselect_b32 s45, s47, s45
	s_add_i32 s46, s44, 1
	s_cmp_ge_u32 s45, s29
	s_cselect_b32 s44, s46, s44
	s_xor_b32 s44, s44, s1
	s_sub_i32 s1, s44, s1
	.loc	1 11 29                         ; persistent_matmul.py:11:29 @[ persistent_matmul.py:65:90 ]
	s_lshl_b32 s44, s1, 3
	.loc	1 12 35                         ; persistent_matmul.py:12:35 @[ persistent_matmul.py:65:90 ]
	s_sub_i32 s45, s26, s44
	.loc	1 12 48 is_stmt 0               ; persistent_matmul.py:12:48 @[ persistent_matmul.py:65:90 ]
	s_min_i32 s45, s45, 8
	.loc	1 13 37 is_stmt 1               ; persistent_matmul.py:13:37 @[ persistent_matmul.py:65:90 ]
	s_abs_i32 s46, s45
	v_cvt_f32_u32_e32 v18, s46
	s_sub_i32 s47, 0, s46
	.loc	1 14 23                         ; persistent_matmul.py:14:23 @[ persistent_matmul.py:65:90 ]
	s_mul_i32 s1, s1, s28
	.loc	1 13 37                         ; persistent_matmul.py:13:37 @[ persistent_matmul.py:65:90 ]
	v_rcp_iflag_f32_e32 v18, v18
	s_nop 0
	v_mul_f32_e32 v18, 0x4f7ffffe, v18
	v_cvt_u32_f32_e32 v18, v18
	s_nop 0
	v_readfirstlane_b32 s48, v18
	s_mul_i32 s47, s47, s48
	s_mul_hi_u32 s47, s48, s47
	s_add_i32 s48, s48, s47
	s_mul_hi_u32 s47, s43, s48
	s_mul_i32 s47, s47, s46
	s_sub_i32 s43, s43, s47
	s_sub_i32 s47, s43, s46
	s_cmp_ge_u32 s43, s46
	s_cselect_b32 s43, s47, s43
	s_sub_i32 s47, s43, s46
	s_cmp_ge_u32 s43, s46
	s_cselect_b32 s43, s47, s43
	s_xor_b32 s43, s43, s0
	.loc	1 14 23                         ; persistent_matmul.py:14:23 @[ persistent_matmul.py:65:90 ]
	s_sub_i32 s1, s25, s1
	.loc	1 13 37                         ; persistent_matmul.py:13:37 @[ persistent_matmul.py:65:90 ]
	s_sub_i32 s0, s43, s0
	.loc	1 13 27 is_stmt 0               ; persistent_matmul.py:13:27 @[ persistent_matmul.py:65:90 ]
	s_add_i32 s44, s44, s0
	.loc	1 14 44 is_stmt 1               ; persistent_matmul.py:14:44 @[ persistent_matmul.py:65:90 ]
	s_abs_i32 s0, s1
	s_xor_b32 s45, s1, s45
	s_mul_hi_u32 s1, s0, s48
	s_ashr_i32 s43, s45, 31
	s_mul_i32 s45, s1, s46
	s_sub_i32 s0, s0, s45
	s_add_i32 s45, s1, 1
	s_sub_i32 s47, s0, s46
	s_cmp_ge_u32 s0, s46
	s_cselect_b32 s1, s45, s1
	s_cselect_b32 s0, s47, s0
	s_add_i32 s45, s1, 1
	s_cmp_ge_u32 s0, s46
	s_cselect_b32 s0, s45, s1
	s_xor_b32 s0, s0, s43
	s_sub_i32 s0, s0, s43
.Ltmp37:
	.loc	1 66 41                         ; persistent_matmul.py:66:41
	v_lshl_or_b32 v21, s44, 6, v26
	.loc	1 67 26                         ; persistent_matmul.py:67:26
	s_lshl_b32 s43, s0, 6
	.loc	1 67 41 is_stmt 0               ; persistent_matmul.py:67:41
	v_or_b32_e32 v20, s43, v27
	.loc	1 68 37 is_stmt 1               ; persistent_matmul.py:68:37
	v_mul_lo_u32 v18, v21, s15
	.loc	1 68 25 is_stmt 0               ; persistent_matmul.py:68:25
	v_ashrrev_i32_e32 v19, 31, v18
	.loc	1 69 37 is_stmt 1               ; persistent_matmul.py:69:37
	v_cmp_gt_i32_e32 vcc, s8, v21
	.loc	1 69 62 is_stmt 0               ; persistent_matmul.py:69:62
	v_cmp_gt_i32_e64 s[0:1], s9, v20
	.loc	1 68 25 is_stmt 1               ; persistent_matmul.py:68:25
	v_lshl_add_u64 v[18:19], v[18:19], 2, s[6:7]
	.loc	1 69 43                         ; persistent_matmul.py:69:43
	s_and_b64 s[44:45], vcc, s[0:1]
	.loc	1 74 25                         ; persistent_matmul.py:74:25
	s_and_saveexec_b64 s[0:1], s[44:45]
	s_cbranch_execz .LBB0_104
; %bb.103:                              ;   in Loop: Header=BB0_82 Depth=1
	.loc	1 0 25 is_stmt 0                ; persistent_matmul.py:0:25
	v_mul_lo_u32 v20, v20, s17
	v_ashrrev_i32_e32 v21, 31, v20
	v_lshl_add_u64 v[20:21], v[20:21], 2, v[18:19]
	.loc	1 74 25                         ; persistent_matmul.py:74:25
	global_store_dword v[20:21], v2, off
.LBB0_104:                              ;   in Loop: Header=BB0_82 Depth=1
	.loc	1 0 25                          ; persistent_matmul.py:0:25
	s_or_b64 exec, exec, s[0:1]
	.loc	1 67 41 is_stmt 1               ; persistent_matmul.py:67:41
	v_or_b32_e32 v20, s43, v28
	.loc	1 69 62                         ; persistent_matmul.py:69:62
	v_cmp_gt_i32_e64 s[0:1], s9, v20
	.loc	1 69 43 is_stmt 0               ; persistent_matmul.py:69:43
	s_and_b64 s[44:45], vcc, s[0:1]
	.loc	1 74 25 is_stmt 1               ; persistent_matmul.py:74:25
	s_and_saveexec_b64 s[0:1], s[44:45]
	s_cbranch_execz .LBB0_106
; %bb.105:                              ;   in Loop: Header=BB0_82 Depth=1
	.loc	1 68 68                         ; persistent_matmul.py:68:68
	v_mul_lo_u32 v20, v20, s17
	.loc	1 68 56 is_stmt 0               ; persistent_matmul.py:68:56
	v_ashrrev_i32_e32 v21, 31, v20
	v_lshl_add_u64 v[20:21], v[20:21], 2, v[18:19]
	.loc	1 74 25 is_stmt 1               ; persistent_matmul.py:74:25
	global_store_dword v[20:21], v3, off
.LBB0_106:                              ;   in Loop: Header=BB0_82 Depth=1
	.loc	1 0 25 is_stmt 0                ; persistent_matmul.py:0:25
	s_or_b64 exec, exec, s[0:1]
	.loc	1 67 41 is_stmt 1               ; persistent_matmul.py:67:41
	v_or_b32_e32 v20, s43, v29
	.loc	1 69 62                         ; persistent_matmul.py:69:62
	v_cmp_gt_i32_e64 s[0:1], s9, v20
	.loc	1 69 43 is_stmt 0               ; persistent_matmul.py:69:43
	s_and_b64 s[44:45], vcc, s[0:1]
	.loc	1 74 25 is_stmt 1               ; persistent_matmul.py:74:25
	s_and_saveexec_b64 s[0:1], s[44:45]
	s_cbranch_execz .LBB0_108
; %bb.107:                              ;   in Loop: Header=BB0_82 Depth=1
	.loc	1 68 68                         ; persistent_matmul.py:68:68
	v_mul_lo_u32 v20, v20, s17
	.loc	1 68 56 is_stmt 0               ; persistent_matmul.py:68:56
	v_ashrrev_i32_e32 v21, 31, v20
	v_lshl_add_u64 v[20:21], v[20:21], 2, v[18:19]
	.loc	1 74 25 is_stmt 1               ; persistent_matmul.py:74:25
	global_store_dword v[20:21], v4, off
.LBB0_108:                              ;   in Loop: Header=BB0_82 Depth=1
	.loc	1 0 25 is_stmt 0                ; persistent_matmul.py:0:25
	;; [unrolled: 20-line block ×14, first 2 shown]
	s_or_b64 exec, exec, s[0:1]
	.loc	1 67 41 is_stmt 1               ; persistent_matmul.py:67:41
	v_or_b32_e32 v20, s43, v42
	.loc	1 69 62                         ; persistent_matmul.py:69:62
	v_cmp_gt_i32_e64 s[0:1], s9, v20
	.loc	1 69 43 is_stmt 0               ; persistent_matmul.py:69:43
	s_and_b64 s[44:45], vcc, s[0:1]
	.loc	1 74 25 is_stmt 1               ; persistent_matmul.py:74:25
	s_and_saveexec_b64 s[0:1], s[44:45]
	s_cbranch_execz .LBB0_80
; %bb.133:                              ;   in Loop: Header=BB0_82 Depth=1
	.loc	1 68 68                         ; persistent_matmul.py:68:68
	v_mul_lo_u32 v20, v20, s17
	.loc	1 68 56 is_stmt 0               ; persistent_matmul.py:68:56
	v_ashrrev_i32_e32 v21, 31, v20
	v_lshl_add_u64 v[18:19], v[20:21], 2, v[18:19]
	.loc	1 74 25 is_stmt 1               ; persistent_matmul.py:74:25
	global_store_dword v[18:19], v17, off
	s_branch .LBB0_80
.LBB0_134:                              ; %._crit_edge.loopexit
	.loc	1 64 21                         ; persistent_matmul.py:64:21
	s_add_i32 s0, s25, 0x68
.LBB0_135:                              ; %._crit_edge
	.loc	1 62 39                         ; persistent_matmul.py:62:39
	s_andn2_b64 vcc, exec, s[20:21]
	.loc	1 60 24                         ; persistent_matmul.py:60:24
	s_waitcnt lgkmcnt(0)
	s_barrier
	.loc	1 62 39                         ; persistent_matmul.py:62:39
	s_cbranch_vccnz .LBB0_137
; %bb.136:
	.loc	1 61 24                         ; persistent_matmul.py:61:24
	s_lshl1_add_u32 s1, s34, 0
	v_lshl_add_u32 v18, v44, 3, s1
	v_lshl_add_u32 v22, v1, 2, v18
	ds_read2st64_b32 v[18:19], v22 offset0:16 offset1:18
	.loc	1 60 24                         ; persistent_matmul.py:60:24
	v_lshlrev_b32_e32 v1, 6, v1
	s_lshl_b32 s1, s33, 4
	v_bitop3_b32 v0, v43, v0, 12 bitop3:0x78
	v_or3_b32 v20, s1, v1, v0
	v_add_u32_e32 v23, 0, v20
	ds_read2_b32 v[0:1], v23 offset1:4
	v_xad_u32 v24, v20, 8, 0
	ds_read2_b32 v[20:21], v24 offset1:4
	.loc	1 62 39                         ; persistent_matmul.py:62:39
	s_waitcnt lgkmcnt(1)
	v_mfma_f32_32x32x2_f32 v[2:17], v18, v0, v[2:17]
	s_waitcnt lgkmcnt(0)
	v_mfma_f32_32x32x2_f32 v[2:17], v19, v20, v[2:17]
	.loc	1 61 24                         ; persistent_matmul.py:61:24
	ds_read2st64_b32 v[18:19], v22 offset0:20 offset1:22
	.loc	1 62 39                         ; persistent_matmul.py:62:39
	s_waitcnt lgkmcnt(0)
	v_mfma_f32_32x32x2_f32 v[2:17], v18, v1, v[2:17]
	v_mfma_f32_32x32x2_f32 v[2:17], v19, v21, v[2:17]
	.loc	1 61 24                         ; persistent_matmul.py:61:24
	ds_read2st64_b32 v[0:1], v22 offset0:24 offset1:26
	.loc	1 60 24                         ; persistent_matmul.py:60:24
	ds_read2_b32 v[18:19], v23 offset0:8 offset1:12
	ds_read2_b32 v[20:21], v24 offset0:8 offset1:12
	.loc	1 62 39                         ; persistent_matmul.py:62:39
	s_waitcnt lgkmcnt(1)
	v_mfma_f32_32x32x2_f32 v[2:17], v0, v18, v[2:17]
	s_waitcnt lgkmcnt(0)
	v_mfma_f32_32x32x2_f32 v[2:17], v1, v20, v[2:17]
	.loc	1 61 24                         ; persistent_matmul.py:61:24
	ds_read2st64_b32 v[0:1], v22 offset0:28 offset1:30
	.loc	1 62 39                         ; persistent_matmul.py:62:39
	s_waitcnt lgkmcnt(0)
	v_mfma_f32_32x32x2_f32 v[2:17], v0, v19, v[2:17]
	v_mfma_f32_32x32x2_f32 v[2:17], v1, v21, v[2:17]
.LBB0_137:
	.loc	1 43 59                         ; persistent_matmul.py:43:59
	s_cmp_lg_u32 s24, s35
	s_cselect_b64 s[2:3], -1, 0
	s_or_b64 s[2:3], s[22:23], s[2:3]
	s_and_b64 vcc, exec, s[2:3]
	s_cbranch_vccnz .LBB0_171
; %bb.138:
.Ltmp38:
	.loc	1 10 26                         ; persistent_matmul.py:10:26 @[ persistent_matmul.py:65:90 ]
	s_abs_i32 s3, s0
	s_mul_hi_u32 s4, s3, s31
	s_mul_i32 s5, s4, s29
	s_ashr_i32 s1, s0, 31
	s_sub_i32 s5, s3, s5
	s_xor_b32 s2, s1, s30
	s_add_i32 s10, s4, 1
	s_sub_i32 s11, s5, s29
	s_cmp_ge_u32 s5, s29
	s_cselect_b32 s4, s10, s4
	s_cselect_b32 s5, s11, s5
	s_add_i32 s10, s4, 1
	s_cmp_ge_u32 s5, s29
	s_cselect_b32 s4, s10, s4
	s_xor_b32 s4, s4, s2
	s_sub_i32 s2, s4, s2
	.loc	1 11 29                         ; persistent_matmul.py:11:29 @[ persistent_matmul.py:65:90 ]
	s_lshl_b32 s4, s2, 3
	.loc	1 12 35                         ; persistent_matmul.py:12:35 @[ persistent_matmul.py:65:90 ]
	s_sub_i32 s5, s26, s4
	.loc	1 12 48 is_stmt 0               ; persistent_matmul.py:12:48 @[ persistent_matmul.py:65:90 ]
	s_min_i32 s5, s5, 8
	.loc	1 13 37 is_stmt 1               ; persistent_matmul.py:13:37 @[ persistent_matmul.py:65:90 ]
	s_abs_i32 s10, s5
	v_cvt_f32_u32_e32 v0, s10
	s_sub_i32 s11, 0, s10
	.loc	1 14 23                         ; persistent_matmul.py:14:23 @[ persistent_matmul.py:65:90 ]
	s_mul_i32 s2, s2, s28
	.loc	1 13 37                         ; persistent_matmul.py:13:37 @[ persistent_matmul.py:65:90 ]
	v_rcp_iflag_f32_e32 v0, v0
	s_nop 0
	v_mul_f32_e32 v0, 0x4f7ffffe, v0
	v_cvt_u32_f32_e32 v0, v0
	s_nop 0
	v_readfirstlane_b32 s12, v0
	s_mul_i32 s11, s11, s12
	s_mul_hi_u32 s11, s12, s11
	s_add_i32 s12, s12, s11
	s_mul_hi_u32 s11, s3, s12
	s_mul_i32 s11, s11, s10
	s_sub_i32 s3, s3, s11
	s_sub_i32 s11, s3, s10
	s_cmp_ge_u32 s3, s10
	s_cselect_b32 s3, s11, s3
	s_sub_i32 s11, s3, s10
	s_cmp_ge_u32 s3, s10
	s_cselect_b32 s3, s11, s3
	.loc	1 14 23                         ; persistent_matmul.py:14:23 @[ persistent_matmul.py:65:90 ]
	s_sub_i32 s0, s0, s2
	.loc	1 13 37                         ; persistent_matmul.py:13:37 @[ persistent_matmul.py:65:90 ]
	s_xor_b32 s2, s3, s1
	.loc	1 14 44                         ; persistent_matmul.py:14:44 @[ persistent_matmul.py:65:90 ]
	s_xor_b32 s3, s0, s5
	.loc	1 13 37                         ; persistent_matmul.py:13:37 @[ persistent_matmul.py:65:90 ]
	s_sub_i32 s1, s2, s1
	.loc	1 14 44                         ; persistent_matmul.py:14:44 @[ persistent_matmul.py:65:90 ]
	s_abs_i32 s0, s0
	.loc	1 13 27                         ; persistent_matmul.py:13:27 @[ persistent_matmul.py:65:90 ]
	s_add_i32 s4, s4, s1
	.loc	1 14 44                         ; persistent_matmul.py:14:44 @[ persistent_matmul.py:65:90 ]
	s_mul_hi_u32 s1, s0, s12
	s_ashr_i32 s2, s3, 31
	s_mul_i32 s3, s1, s10
	s_sub_i32 s0, s0, s3
	s_add_i32 s3, s1, 1
	s_sub_i32 s5, s0, s10
	s_cmp_ge_u32 s0, s10
	s_cselect_b32 s1, s3, s1
	s_cselect_b32 s0, s5, s0
	s_add_i32 s3, s1, 1
	s_cmp_ge_u32 s0, s10
	s_cselect_b32 s0, s3, s1
	s_xor_b32 s0, s0, s2
	s_sub_i32 s0, s0, s2
.Ltmp39:
	.loc	1 66 41                         ; persistent_matmul.py:66:41
	v_lshl_or_b32 v19, s4, 6, v26
	.loc	1 67 26                         ; persistent_matmul.py:67:26
	s_lshl_b32 s2, s0, 6
	.loc	1 67 41 is_stmt 0               ; persistent_matmul.py:67:41
	v_or_b32_e32 v18, s2, v27
	.loc	1 68 37 is_stmt 1               ; persistent_matmul.py:68:37
	v_mul_lo_u32 v0, v19, s15
	.loc	1 68 25 is_stmt 0               ; persistent_matmul.py:68:25
	v_ashrrev_i32_e32 v1, 31, v0
	.loc	1 69 37 is_stmt 1               ; persistent_matmul.py:69:37
	v_cmp_gt_i32_e32 vcc, s8, v19
	.loc	1 69 62 is_stmt 0               ; persistent_matmul.py:69:62
	v_cmp_gt_i32_e64 s[0:1], s9, v18
	.loc	1 68 25 is_stmt 1               ; persistent_matmul.py:68:25
	v_lshl_add_u64 v[0:1], v[0:1], 2, s[6:7]
	.loc	1 69 43                         ; persistent_matmul.py:69:43
	s_and_b64 s[4:5], vcc, s[0:1]
	.loc	1 74 25                         ; persistent_matmul.py:74:25
	s_and_saveexec_b64 s[0:1], s[4:5]
	s_cbranch_execz .LBB0_140
; %bb.139:
	.loc	1 0 25 is_stmt 0                ; persistent_matmul.py:0:25
	v_mul_lo_u32 v18, v18, s17
	v_ashrrev_i32_e32 v19, 31, v18
	v_lshl_add_u64 v[18:19], v[18:19], 2, v[0:1]
	.loc	1 74 25                         ; persistent_matmul.py:74:25
	global_store_dword v[18:19], v2, off
.LBB0_140:
	.loc	1 0 25                          ; persistent_matmul.py:0:25
	s_or_b64 exec, exec, s[0:1]
	.loc	1 67 41 is_stmt 1               ; persistent_matmul.py:67:41
	v_or_b32_e32 v2, s2, v28
	.loc	1 69 62                         ; persistent_matmul.py:69:62
	v_cmp_gt_i32_e64 s[0:1], s9, v2
	.loc	1 69 43 is_stmt 0               ; persistent_matmul.py:69:43
	s_and_b64 s[4:5], vcc, s[0:1]
	.loc	1 74 25 is_stmt 1               ; persistent_matmul.py:74:25
	s_and_saveexec_b64 s[0:1], s[4:5]
	s_cbranch_execz .LBB0_142
; %bb.141:
	.loc	1 68 68                         ; persistent_matmul.py:68:68
	v_mul_lo_u32 v18, v2, s17
	.loc	1 68 56 is_stmt 0               ; persistent_matmul.py:68:56
	v_ashrrev_i32_e32 v19, 31, v18
	v_lshl_add_u64 v[18:19], v[18:19], 2, v[0:1]
	.loc	1 74 25 is_stmt 1               ; persistent_matmul.py:74:25
	global_store_dword v[18:19], v3, off
.LBB0_142:
	.loc	1 0 25 is_stmt 0                ; persistent_matmul.py:0:25
	s_or_b64 exec, exec, s[0:1]
	.loc	1 67 41 is_stmt 1               ; persistent_matmul.py:67:41
	v_or_b32_e32 v2, s2, v29
	.loc	1 69 62                         ; persistent_matmul.py:69:62
	v_cmp_gt_i32_e64 s[0:1], s9, v2
	.loc	1 69 43 is_stmt 0               ; persistent_matmul.py:69:43
	s_and_b64 s[4:5], vcc, s[0:1]
	.loc	1 74 25 is_stmt 1               ; persistent_matmul.py:74:25
	s_and_saveexec_b64 s[0:1], s[4:5]
	s_cbranch_execz .LBB0_144
; %bb.143:
	.loc	1 68 68                         ; persistent_matmul.py:68:68
	v_mul_lo_u32 v2, v2, s17
	.loc	1 68 56 is_stmt 0               ; persistent_matmul.py:68:56
	v_ashrrev_i32_e32 v3, 31, v2
	v_lshl_add_u64 v[2:3], v[2:3], 2, v[0:1]
	.loc	1 74 25 is_stmt 1               ; persistent_matmul.py:74:25
	global_store_dword v[2:3], v4, off
.LBB0_144:
	.loc	1 0 25 is_stmt 0                ; persistent_matmul.py:0:25
	;; [unrolled: 20-line block ×14, first 2 shown]
	s_or_b64 exec, exec, s[0:1]
	.loc	1 67 41 is_stmt 1               ; persistent_matmul.py:67:41
	v_or_b32_e32 v2, s2, v42
	.loc	1 69 62                         ; persistent_matmul.py:69:62
	v_cmp_gt_i32_e64 s[0:1], s9, v2
	.loc	1 69 43 is_stmt 0               ; persistent_matmul.py:69:43
	s_and_b64 s[2:3], vcc, s[0:1]
	.loc	1 74 25 is_stmt 1               ; persistent_matmul.py:74:25
	s_and_saveexec_b64 s[0:1], s[2:3]
	s_cbranch_execz .LBB0_170
; %bb.169:
	.loc	1 68 68                         ; persistent_matmul.py:68:68
	v_mul_lo_u32 v2, v2, s17
	.loc	1 68 56 is_stmt 0               ; persistent_matmul.py:68:56
	v_ashrrev_i32_e32 v3, 31, v2
	v_lshl_add_u64 v[0:1], v[2:3], 2, v[0:1]
	.loc	1 74 25 is_stmt 1               ; persistent_matmul.py:74:25
	global_store_dword v[0:1], v17, off
.LBB0_170:                              ; %Flow
	.loc	1 0 25 is_stmt 0                ; persistent_matmul.py:0:25
	s_or_b64 exec, exec, s[0:1]
.LBB0_171:                              ; %Flow95
	s_mov_b64 s[0:1], 0
.LBB0_172:                              ; %Flow107
	s_and_b64 vcc, exec, s[0:1]
	s_cbranch_vccz .LBB0_208
; %bb.173:                              ; %.preheader
	.loc	1 43 59 is_stmt 1               ; persistent_matmul.py:43:59
	s_cmp_le_i32 s27, s16
	s_cbranch_scc1 .LBB0_208
; %bb.174:                              ; %.lr.ph9.preheader
	.loc	1 0 59 is_stmt 0                ; persistent_matmul.py:0:59
	s_abs_i32 s2, s28
	v_cvt_f32_u32_e32 v0, s2
	s_sub_i32 s0, 0, s2
	s_ashr_i32 s3, s28, 31
.Ltmp40:
	.loc	1 14 44 is_stmt 1               ; persistent_matmul.py:14:44 @[ persistent_matmul.py:65:90 ]
	s_sub_i32 s4, 0, s28
	v_rcp_iflag_f32_e32 v0, v0
	s_nop 1
	v_mov_b32_e32 v2, 0
	v_mul_f32_e32 v0, 0x4f7ffffe, v0
	v_cvt_u32_f32_e32 v0, v0
	s_nop 0
	v_readfirstlane_b32 s1, v0
	s_mul_i32 s0, s0, s1
	s_mul_hi_u32 s0, s1, s0
	s_add_i32 s5, s1, s0
	s_branch .LBB0_176
.Ltmp41:
.LBB0_175:                              ;   in Loop: Header=BB0_176 Depth=1
	.loc	1 0 44 is_stmt 0                ; persistent_matmul.py:0:44
	s_or_b64 exec, exec, s[0:1]
	.loc	1 43 59 is_stmt 1               ; persistent_matmul.py:43:59
	s_addk_i32 s16, 0x68
	s_cmp_ge_i32 s16, s27
	s_cbranch_scc1 .LBB0_208
.LBB0_176:                              ; %.lr.ph9
                                        ; =>This Inner Loop Header: Depth=1
.Ltmp42:
	.loc	1 10 26                         ; persistent_matmul.py:10:26 @[ persistent_matmul.py:65:90 ]
	s_abs_i32 s10, s16
	s_mul_hi_u32 s11, s10, s5
	s_mul_i32 s12, s11, s2
	s_ashr_i32 s0, s16, 31
	s_sub_i32 s12, s10, s12
	s_xor_b32 s1, s0, s3
	s_add_i32 s13, s11, 1
	s_sub_i32 s14, s12, s2
	s_cmp_ge_u32 s12, s2
	s_cselect_b32 s11, s13, s11
	s_cselect_b32 s12, s14, s12
	s_add_i32 s13, s11, 1
	s_cmp_ge_u32 s12, s2
	s_cselect_b32 s11, s13, s11
	s_xor_b32 s11, s11, s1
	s_sub_i32 s1, s11, s1
	.loc	1 11 29                         ; persistent_matmul.py:11:29 @[ persistent_matmul.py:65:90 ]
	s_lshl_b32 s11, s1, 3
	.loc	1 12 35                         ; persistent_matmul.py:12:35 @[ persistent_matmul.py:65:90 ]
	s_sub_i32 s12, s26, s11
	.loc	1 12 48 is_stmt 0               ; persistent_matmul.py:12:48 @[ persistent_matmul.py:65:90 ]
	s_min_i32 s12, s12, 8
	.loc	1 13 37 is_stmt 1               ; persistent_matmul.py:13:37 @[ persistent_matmul.py:65:90 ]
	s_abs_i32 s13, s12
	v_cvt_f32_u32_e32 v0, s13
	s_sub_i32 s18, 0, s13
	s_ashr_i32 s12, s12, 31
	.loc	1 14 23                         ; persistent_matmul.py:14:23 @[ persistent_matmul.py:65:90 ]
	s_mul_i32 s14, s1, s28
	.loc	1 13 37                         ; persistent_matmul.py:13:37 @[ persistent_matmul.py:65:90 ]
	v_rcp_iflag_f32_e32 v0, v0
	.loc	1 14 44                         ; persistent_matmul.py:14:44 @[ persistent_matmul.py:65:90 ]
	s_mul_i32 s1, s4, s1
	.loc	1 13 37                         ; persistent_matmul.py:13:37 @[ persistent_matmul.py:65:90 ]
	v_mul_f32_e32 v0, 0x4f7ffffe, v0
	v_cvt_u32_f32_e32 v0, v0
	s_nop 0
	v_readfirstlane_b32 s19, v0
	s_mul_i32 s18, s18, s19
	s_mul_hi_u32 s18, s19, s18
	s_add_i32 s19, s19, s18
	s_mul_hi_u32 s18, s10, s19
	s_mul_i32 s18, s18, s13
	s_sub_i32 s10, s10, s18
	s_sub_i32 s18, s10, s13
	s_cmp_ge_u32 s10, s13
	s_cselect_b32 s10, s18, s10
	s_sub_i32 s18, s10, s13
	s_cmp_ge_u32 s10, s13
	s_cselect_b32 s10, s18, s10
	s_xor_b32 s10, s10, s0
	.loc	1 14 44                         ; persistent_matmul.py:14:44 @[ persistent_matmul.py:65:90 ]
	s_add_i32 s1, s16, s1
	.loc	1 13 37                         ; persistent_matmul.py:13:37 @[ persistent_matmul.py:65:90 ]
	s_sub_i32 s0, s10, s0
	.loc	1 13 27 is_stmt 0               ; persistent_matmul.py:13:27 @[ persistent_matmul.py:65:90 ]
	s_add_i32 s11, s11, s0
	.loc	1 14 44 is_stmt 1               ; persistent_matmul.py:14:44 @[ persistent_matmul.py:65:90 ]
	s_ashr_i32 s0, s1, 31
	s_sub_i32 s10, s0, s14
	s_add_i32 s10, s16, s10
	s_xor_b32 s1, s0, s12
	s_xor_b32 s0, s10, s0
	s_mul_hi_u32 s10, s0, s19
	s_mul_i32 s12, s10, s13
	s_sub_i32 s0, s0, s12
	s_add_i32 s12, s10, 1
	s_sub_i32 s14, s0, s13
	s_cmp_ge_u32 s0, s13
	s_cselect_b32 s10, s12, s10
	s_cselect_b32 s0, s14, s0
	s_add_i32 s12, s10, 1
	s_cmp_ge_u32 s0, s13
	s_cselect_b32 s0, s12, s10
	s_xor_b32 s0, s0, s1
	s_sub_i32 s0, s0, s1
.Ltmp43:
	.loc	1 66 41                         ; persistent_matmul.py:66:41
	v_lshl_or_b32 v4, s11, 6, v26
	.loc	1 67 26                         ; persistent_matmul.py:67:26
	s_lshl_b32 s10, s0, 6
	.loc	1 67 41 is_stmt 0               ; persistent_matmul.py:67:41
	v_or_b32_e32 v3, s10, v27
	.loc	1 68 37 is_stmt 1               ; persistent_matmul.py:68:37
	v_mul_lo_u32 v0, v4, s15
	.loc	1 68 25 is_stmt 0               ; persistent_matmul.py:68:25
	v_ashrrev_i32_e32 v1, 31, v0
	.loc	1 69 37 is_stmt 1               ; persistent_matmul.py:69:37
	v_cmp_gt_i32_e32 vcc, s8, v4
	.loc	1 69 62 is_stmt 0               ; persistent_matmul.py:69:62
	v_cmp_gt_i32_e64 s[0:1], s9, v3
	.loc	1 68 25 is_stmt 1               ; persistent_matmul.py:68:25
	v_lshl_add_u64 v[0:1], v[0:1], 2, s[6:7]
	.loc	1 69 43                         ; persistent_matmul.py:69:43
	s_and_b64 s[12:13], vcc, s[0:1]
	.loc	1 74 25                         ; persistent_matmul.py:74:25
	s_and_saveexec_b64 s[0:1], s[12:13]
	s_cbranch_execz .LBB0_178
; %bb.177:                              ;   in Loop: Header=BB0_176 Depth=1
	.loc	1 0 25 is_stmt 0                ; persistent_matmul.py:0:25
	s_waitcnt lgkmcnt(0)
	v_mul_lo_u32 v4, v3, s17
	v_ashrrev_i32_e32 v5, 31, v4
	v_lshl_add_u64 v[4:5], v[4:5], 2, v[0:1]
	.loc	1 74 25                         ; persistent_matmul.py:74:25
	global_store_dword v[4:5], v2, off
.LBB0_178:                              ;   in Loop: Header=BB0_176 Depth=1
	.loc	1 0 25                          ; persistent_matmul.py:0:25
	s_or_b64 exec, exec, s[0:1]
	.loc	1 67 41 is_stmt 1               ; persistent_matmul.py:67:41
	v_or_b32_e32 v3, s10, v28
	.loc	1 69 62                         ; persistent_matmul.py:69:62
	v_cmp_gt_i32_e64 s[0:1], s9, v3
	.loc	1 69 43 is_stmt 0               ; persistent_matmul.py:69:43
	s_and_b64 s[12:13], vcc, s[0:1]
	.loc	1 74 25 is_stmt 1               ; persistent_matmul.py:74:25
	s_and_saveexec_b64 s[0:1], s[12:13]
	s_cbranch_execz .LBB0_180
; %bb.179:                              ;   in Loop: Header=BB0_176 Depth=1
	.loc	1 68 68                         ; persistent_matmul.py:68:68
	s_waitcnt lgkmcnt(0)
	v_mul_lo_u32 v4, v3, s17
	.loc	1 68 56 is_stmt 0               ; persistent_matmul.py:68:56
	v_ashrrev_i32_e32 v5, 31, v4
	v_lshl_add_u64 v[4:5], v[4:5], 2, v[0:1]
	.loc	1 74 25 is_stmt 1               ; persistent_matmul.py:74:25
	global_store_dword v[4:5], v2, off
.LBB0_180:                              ;   in Loop: Header=BB0_176 Depth=1
	.loc	1 0 25 is_stmt 0                ; persistent_matmul.py:0:25
	s_or_b64 exec, exec, s[0:1]
	.loc	1 67 41 is_stmt 1               ; persistent_matmul.py:67:41
	v_or_b32_e32 v3, s10, v29
	.loc	1 69 62                         ; persistent_matmul.py:69:62
	v_cmp_gt_i32_e64 s[0:1], s9, v3
	.loc	1 69 43 is_stmt 0               ; persistent_matmul.py:69:43
	s_and_b64 s[12:13], vcc, s[0:1]
	.loc	1 74 25 is_stmt 1               ; persistent_matmul.py:74:25
	s_and_saveexec_b64 s[0:1], s[12:13]
	s_cbranch_execz .LBB0_182
; %bb.181:                              ;   in Loop: Header=BB0_176 Depth=1
	.loc	1 68 68                         ; persistent_matmul.py:68:68
	s_waitcnt lgkmcnt(0)
	v_mul_lo_u32 v4, v3, s17
	.loc	1 68 56 is_stmt 0               ; persistent_matmul.py:68:56
	v_ashrrev_i32_e32 v5, 31, v4
	v_lshl_add_u64 v[4:5], v[4:5], 2, v[0:1]
	.loc	1 74 25 is_stmt 1               ; persistent_matmul.py:74:25
	global_store_dword v[4:5], v2, off
.LBB0_182:                              ;   in Loop: Header=BB0_176 Depth=1
	.loc	1 0 25 is_stmt 0                ; persistent_matmul.py:0:25
	;; [unrolled: 21-line block ×14, first 2 shown]
	s_or_b64 exec, exec, s[0:1]
	.loc	1 67 41 is_stmt 1               ; persistent_matmul.py:67:41
	v_or_b32_e32 v3, s10, v42
	.loc	1 69 62                         ; persistent_matmul.py:69:62
	v_cmp_gt_i32_e64 s[0:1], s9, v3
	.loc	1 69 43 is_stmt 0               ; persistent_matmul.py:69:43
	s_and_b64 s[10:11], vcc, s[0:1]
	.loc	1 74 25 is_stmt 1               ; persistent_matmul.py:74:25
	s_and_saveexec_b64 s[0:1], s[10:11]
	s_cbranch_execz .LBB0_175
; %bb.207:                              ;   in Loop: Header=BB0_176 Depth=1
	.loc	1 68 68                         ; persistent_matmul.py:68:68
	s_waitcnt lgkmcnt(0)
	v_mul_lo_u32 v4, v3, s17
	.loc	1 68 56 is_stmt 0               ; persistent_matmul.py:68:56
	v_ashrrev_i32_e32 v5, 31, v4
	v_lshl_add_u64 v[0:1], v[4:5], 2, v[0:1]
	.loc	1 74 25 is_stmt 1               ; persistent_matmul.py:74:25
	global_store_dword v[0:1], v2, off
	s_branch .LBB0_175
.LBB0_208:                              ; %.loopexit
	.loc	1 43 4                          ; persistent_matmul.py:43:4
	s_endpgm
.Ltmp44:
	.section	.rodata,"a",@progbits
	.p2align	6, 0x0
	.amdhsa_kernel matmul_kernel_persistent
		.amdhsa_group_segment_fixed_size 0
		.amdhsa_private_segment_fixed_size 0
		.amdhsa_kernarg_size 80
		.amdhsa_user_sgpr_count 16
		.amdhsa_user_sgpr_dispatch_ptr 0
		.amdhsa_user_sgpr_queue_ptr 0
		.amdhsa_user_sgpr_kernarg_segment_ptr 1
		.amdhsa_user_sgpr_dispatch_id 0
		.amdhsa_user_sgpr_kernarg_preload_length 14
		.amdhsa_user_sgpr_kernarg_preload_offset 0
		.amdhsa_user_sgpr_private_segment_size 0
		.amdhsa_uses_dynamic_stack 0
		.amdhsa_enable_private_segment 0
		.amdhsa_system_sgpr_workgroup_id_x 1
		.amdhsa_system_sgpr_workgroup_id_y 0
		.amdhsa_system_sgpr_workgroup_id_z 0
		.amdhsa_system_sgpr_workgroup_info 0
		.amdhsa_system_vgpr_workitem_id 0
		.amdhsa_next_free_vgpr 72
		.amdhsa_next_free_sgpr 52
		.amdhsa_accum_offset 72
		.amdhsa_reserve_vcc 1
		.amdhsa_reserve_xnack_mask 1
		.amdhsa_float_round_mode_32 0
		.amdhsa_float_round_mode_16_64 0
		.amdhsa_float_denorm_mode_32 3
		.amdhsa_float_denorm_mode_16_64 3
		.amdhsa_dx10_clamp 1
		.amdhsa_ieee_mode 1
		.amdhsa_fp16_overflow 0
		.amdhsa_tg_split 0
		.amdhsa_exception_fp_ieee_invalid_op 0
		.amdhsa_exception_fp_denorm_src 0
		.amdhsa_exception_fp_ieee_div_zero 0
		.amdhsa_exception_fp_ieee_overflow 0
		.amdhsa_exception_fp_ieee_underflow 0
		.amdhsa_exception_fp_ieee_inexact 0
		.amdhsa_exception_int_div_zero 0
	.end_amdhsa_kernel
	.text
.Lfunc_end0:
	.size	matmul_kernel_persistent, .Lfunc_end0-matmul_kernel_persistent
	.cfi_endproc
                                        ; -- End function
	.set matmul_kernel_persistent.num_vgpr, 72
	.set matmul_kernel_persistent.num_agpr, 0
	.set matmul_kernel_persistent.numbered_sgpr, 52
	.set matmul_kernel_persistent.num_named_barrier, 0
	.set matmul_kernel_persistent.private_seg_size, 0
	.set matmul_kernel_persistent.uses_vcc, 1
	.set matmul_kernel_persistent.uses_flat_scratch, 0
	.set matmul_kernel_persistent.has_dyn_sized_stack, 0
	.set matmul_kernel_persistent.has_recursion, 0
	.set matmul_kernel_persistent.has_indirect_call, 0
	.section	.AMDGPU.csdata,"",@progbits
; Kernel info:
; codeLenInByte = 8832
; TotalNumSgprs: 58
; NumVgprs: 72
; NumAgprs: 0
; TotalNumVgprs: 72
; ScratchSize: 0
; MemoryBound: 0
; FloatMode: 240
; IeeeMode: 1
; LDSByteSize: 0 bytes/workgroup (compile time only)
; SGPRBlocks: 7
; VGPRBlocks: 8
; NumSGPRsForWavesPerEU: 58
; NumVGPRsForWavesPerEU: 72
; AccumOffset: 72
; Occupancy: 7
; WaveLimiterHint : 0
; COMPUTE_PGM_RSRC2:SCRATCH_EN: 0
; COMPUTE_PGM_RSRC2:USER_SGPR: 16
; COMPUTE_PGM_RSRC2:TRAP_HANDLER: 0
; COMPUTE_PGM_RSRC2:TGID_X_EN: 1
; COMPUTE_PGM_RSRC2:TGID_Y_EN: 0
; COMPUTE_PGM_RSRC2:TGID_Z_EN: 0
; COMPUTE_PGM_RSRC2:TIDIG_COMP_CNT: 0
; COMPUTE_PGM_RSRC3_GFX90A:ACCUM_OFFSET: 17
; COMPUTE_PGM_RSRC3_GFX90A:TG_SPLIT: 0
	.text
	.p2alignl 6, 3212836864
	.fill 256, 4, 3212836864
	.section	.AMDGPU.gpr_maximums,"",@progbits
	.set amdgpu.max_num_vgpr, 0
	.set amdgpu.max_num_agpr, 0
	.set amdgpu.max_num_sgpr, 0
	.set amdgpu.max_num_named_barrier, 0
	.text
	.section	.debug_abbrev,"",@progbits
	.byte	1                               ; Abbreviation Code
	.byte	17                              ; DW_TAG_compile_unit
	.byte	1                               ; DW_CHILDREN_yes
	.byte	37                              ; DW_AT_producer
	.byte	14                              ; DW_FORM_strp
	.byte	19                              ; DW_AT_language
	.byte	5                               ; DW_FORM_data2
	.byte	3                               ; DW_AT_name
	.byte	14                              ; DW_FORM_strp
	.byte	16                              ; DW_AT_stmt_list
	.byte	23                              ; DW_FORM_sec_offset
	.byte	27                              ; DW_AT_comp_dir
	.byte	14                              ; DW_FORM_strp
	.byte	17                              ; DW_AT_low_pc
	.byte	1                               ; DW_FORM_addr
	.byte	18                              ; DW_AT_high_pc
	.byte	6                               ; DW_FORM_data4
	.byte	0                               ; EOM(1)
	.byte	0                               ; EOM(2)
	.byte	2                               ; Abbreviation Code
	.byte	46                              ; DW_TAG_subprogram
	.byte	0                               ; DW_CHILDREN_no
	.byte	3                               ; DW_AT_name
	.byte	14                              ; DW_FORM_strp
	.byte	32                              ; DW_AT_inline
	.byte	11                              ; DW_FORM_data1
	.byte	0                               ; EOM(1)
	.byte	0                               ; EOM(2)
	.byte	3                               ; Abbreviation Code
	.byte	46                              ; DW_TAG_subprogram
	.byte	1                               ; DW_CHILDREN_yes
	.byte	17                              ; DW_AT_low_pc
	.byte	1                               ; DW_FORM_addr
	.byte	18                              ; DW_AT_high_pc
	.byte	6                               ; DW_FORM_data4
	.byte	49                              ; DW_AT_abstract_origin
	.byte	19                              ; DW_FORM_ref4
	.byte	0                               ; EOM(1)
	.byte	0                               ; EOM(2)
	.byte	4                               ; Abbreviation Code
	.byte	29                              ; DW_TAG_inlined_subroutine
	.byte	0                               ; DW_CHILDREN_no
	.byte	49                              ; DW_AT_abstract_origin
	.byte	19                              ; DW_FORM_ref4
	.byte	17                              ; DW_AT_low_pc
	.byte	1                               ; DW_FORM_addr
	.byte	18                              ; DW_AT_high_pc
	.byte	6                               ; DW_FORM_data4
	.byte	88                              ; DW_AT_call_file
	.byte	11                              ; DW_FORM_data1
	.byte	89                              ; DW_AT_call_line
	.byte	11                              ; DW_FORM_data1
	.byte	87                              ; DW_AT_call_column
	.byte	11                              ; DW_FORM_data1
	.byte	0                               ; EOM(1)
	.byte	0                               ; EOM(2)
	.byte	5                               ; Abbreviation Code
	.byte	29                              ; DW_TAG_inlined_subroutine
	.byte	0                               ; DW_CHILDREN_no
	.byte	49                              ; DW_AT_abstract_origin
	.byte	19                              ; DW_FORM_ref4
	.byte	85                              ; DW_AT_ranges
	.byte	23                              ; DW_FORM_sec_offset
	.byte	88                              ; DW_AT_call_file
	.byte	11                              ; DW_FORM_data1
	.byte	89                              ; DW_AT_call_line
	.byte	11                              ; DW_FORM_data1
	.byte	87                              ; DW_AT_call_column
	.byte	11                              ; DW_FORM_data1
	.byte	0                               ; EOM(1)
	.byte	0                               ; EOM(2)
	;; [unrolled: 1-line block ×3, first 2 shown]
	.section	.debug_info,"",@progbits
.Lcu_begin0:
	.long	.Ldebug_info_end0-.Ldebug_info_start0 ; Length of Unit
.Ldebug_info_start0:
	.short	4                               ; DWARF version number
	.long	.debug_abbrev                   ; Offset Into Abbrev. Section
	.byte	8                               ; Address Size (in bytes)
	.byte	1                               ; Abbrev [1] 0xb:0x7c DW_TAG_compile_unit
	.long	.Linfo_string0                  ; DW_AT_producer
	.short	2                               ; DW_AT_language
	.long	.Linfo_string1                  ; DW_AT_name
	.long	.Lline_table_start0             ; DW_AT_stmt_list
	.long	.Linfo_string2                  ; DW_AT_comp_dir
	.quad	.Lfunc_begin0                   ; DW_AT_low_pc
	.long	.Lfunc_end0-.Lfunc_begin0       ; DW_AT_high_pc
	.byte	2                               ; Abbrev [2] 0x2a:0x6 DW_TAG_subprogram
	.long	.Linfo_string3                  ; DW_AT_name
	.byte	1                               ; DW_AT_inline
	.byte	3                               ; Abbrev [3] 0x30:0x56 DW_TAG_subprogram
	.quad	.Lfunc_begin0                   ; DW_AT_low_pc
	.long	.Lfunc_end0-.Lfunc_begin0       ; DW_AT_high_pc
	.long	42                              ; DW_AT_abstract_origin
	.byte	4                               ; Abbrev [4] 0x41:0x14 DW_TAG_inlined_subroutine
	.long	42                              ; DW_AT_abstract_origin
	.quad	.Ltmp1                          ; DW_AT_low_pc
	.long	.Ltmp2-.Ltmp1                   ; DW_AT_high_pc
	.byte	1                               ; DW_AT_call_file
	.byte	31                              ; DW_AT_call_line
	.byte	27                              ; DW_AT_call_column
	.byte	5                               ; Abbrev [5] 0x55:0xc DW_TAG_inlined_subroutine
	.long	42                              ; DW_AT_abstract_origin
	.long	.Ldebug_ranges0                 ; DW_AT_ranges
	.byte	1                               ; DW_AT_call_file
	.byte	32                              ; DW_AT_call_line
	.byte	27                              ; DW_AT_call_column
	.byte	5                               ; Abbrev [5] 0x61:0xc DW_TAG_inlined_subroutine
	.long	42                              ; DW_AT_abstract_origin
	.long	.Ldebug_ranges1                 ; DW_AT_ranges
	;; [unrolled: 6-line block ×4, first 2 shown]
	.byte	1                               ; DW_AT_call_file
	.byte	65                              ; DW_AT_call_line
	.byte	90                              ; DW_AT_call_column
	.byte	0                               ; End Of Children Mark
	.byte	0                               ; End Of Children Mark
.Ldebug_info_end0:
	.section	.debug_ranges,"",@progbits
.Ldebug_ranges0:
	.quad	.Ltmp2-.Lfunc_begin0
	.quad	.Ltmp3-.Lfunc_begin0
	.quad	.Ltmp4-.Lfunc_begin0
	.quad	.Ltmp5-.Lfunc_begin0
	.quad	0
	.quad	0
.Ldebug_ranges1:
	.quad	.Ltmp6-.Lfunc_begin0
	.quad	.Ltmp7-.Lfunc_begin0
	;; [unrolled: 1-line block ×6, first 2 shown]
	.quad	0
	.quad	0
.Ldebug_ranges2:
	.quad	.Ltmp12-.Lfunc_begin0
	.quad	.Ltmp13-.Lfunc_begin0
	;; [unrolled: 1-line block ×24, first 2 shown]
	.quad	0
	.quad	0
.Ldebug_ranges3:
	.quad	.Ltmp36-.Lfunc_begin0
	.quad	.Ltmp37-.Lfunc_begin0
	;; [unrolled: 1-line block ×8, first 2 shown]
	.quad	0
	.quad	0
	.section	.debug_str,"MS",@progbits,1
.Linfo_string0:
	.asciz	"triton"                        ; string offset=0
.Linfo_string1:
	.asciz	"persistent_matmul.py"          ; string offset=7
.Linfo_string2:
	.asciz	"/root/src/amdgpu-assembly/repos/triton-lang__triton-aot" ; string offset=28
.Linfo_string3:
	.asciz	"matmul_kernel_persistent"      ; string offset=84
	.section	".note.GNU-stack","",@progbits
	.amdgpu_metadata
---
amdhsa.kernels:
  - .agpr_count:     0
    .args:
      - .address_space:  global
        .offset:         0
        .size:           8
        .value_kind:     global_buffer
      - .address_space:  global
        .offset:         8
        .size:           8
        .value_kind:     global_buffer
      - .address_space:  global
        .offset:         16
        .size:           8
        .value_kind:     global_buffer
      - .offset:         24
        .size:           4
        .value_kind:     by_value
      - .offset:         28
        .size:           4
        .value_kind:     by_value
      - .offset:         32
        .size:           4
        .value_kind:     by_value
      - .offset:         36
        .size:           4
        .value_kind:     by_value
      - .offset:         40
        .size:           4
        .value_kind:     by_value
      - .offset:         44
        .size:           4
        .value_kind:     by_value
      - .offset:         48
        .size:           4
        .value_kind:     by_value
      - .offset:         52
        .size:           4
        .value_kind:     by_value
      - .offset:         56
        .size:           4
        .value_kind:     by_value
      - .address_space:  global
        .offset:         64
        .size:           8
        .value_kind:     global_buffer
      - .address_space:  global
        .offset:         72
        .size:           8
        .value_kind:     global_buffer
    .group_segment_fixed_size: 0
    .kernarg_segment_align: 8
    .kernarg_segment_size: 80
    .max_flat_workgroup_size: 256
    .name:           matmul_kernel_persistent
    .private_segment_fixed_size: 0
    .sgpr_count:     58
    .sgpr_spill_count: 0
    .symbol:         matmul_kernel_persistent.kd
    .uniform_work_group_size: 1
    .uses_dynamic_stack: false
    .vgpr_count:     72
    .vgpr_spill_count: 0
    .wavefront_size: 64
amdhsa.target:   amdgcn-amd-amdhsa--gfx950
amdhsa.version:
  - 1
  - 2
...

	.end_amdgpu_metadata
	.section	.debug_line,"",@progbits
.Lline_table_start0:
